;; amdgpu-corpus repo=ROCm/aiter kind=harvested arch=n/a opt=n/a

/root/src/amdgpu-assembly/repos/ROCm__aiter/hsa/gfx942/mla/mla_a16w8_qh16_m16x4_n16x1_coex0_mask1_ps_page64_ds32.co:	file format elf64-amdgpu

Disassembly of section .text:

0000000000002300 <_ZN5aiter53mla_a16w8_qh16_m16x4_n16x1_coex0_mask1_ps_page64_ds32E>:
	s_and_b32 s1, s1, 0xffff                                   // 000000002300: 8601FF01 0000FFFF
	s_load_dwordx2 s[28:29], s[0:1], 0xe0                      // 000000002308: C0060700 000000E0
	v_lshrrev_b32_e32 v1, 10, v0                               // 000000002310: 2002008A
	v_lshrrev_b32_e32 v2, 10, v1                               // 000000002314: 2004028A
	v_and_b32_e32 v2, 0x3ff, v2                                // 000000002318: 260404FF 000003FF
	v_and_b32_e32 v1, 0x3ff, v1                                // 000000002320: 260202FF 000003FF
	v_and_b32_e32 v0, 0x3ff, v0                                // 000000002328: 260000FF 000003FF
	v_lshrrev_b32_e32 v3, 6, v0                                // 000000002330: 20060086
	v_and_b32_e32 v0, 63, v0                                   // 000000002334: 260000BF
	s_mov_b32 s2, s2                                           // 000000002338: BE820002
	s_mov_b32 s3, s3                                           // 00000000233C: BE830003
	s_mov_b32 s4, s4                                           // 000000002340: BE840004
	v_readfirstlane_b32 s7, v3                                 // 000000002344: 7E0E0503
	s_waitcnt lgkmcnt(0)                                       // 000000002348: BF8CC07F
	s_and_b32 s29, s29, 0xffff                                 // 00000000234C: 861DFF1D 0000FFFF
	s_load_dwordx2 s[32:33], s[28:29], 0x0                     // 000000002354: C006080E 00000000
	s_load_dwordx2 s[30:31], s[28:29], 0x8                     // 00000000235C: C006078E 00000008
	s_waitcnt lgkmcnt(0)                                       // 000000002364: BF8CC07F
	s_mul_i32 s56, s2, 4                                       // 000000002368: 92388402
	s_and_b32 s33, s33, 0xffff                                 // 00000000236C: 8621FF21 0000FFFF
	s_add_u32 s32, s56, s32                                    // 000000002374: 80202038
	s_addc_u32 s33, 0, s33                                     // 000000002378: 82212180
	s_load_dword s85, s[32:33], 0x0                            // 00000000237C: C0021550 00000000
	s_load_dword s86, s[32:33], 0x4                            // 000000002384: C0021590 00000004
	s_and_b32 s31, s31, 0xffff                                 // 00000000238C: 861FFF1F 0000FFFF
	s_waitcnt lgkmcnt(0)                                       // 000000002394: BF8CC07F
	s_cmp_eq_i32 s85, s86                                      // 000000002398: BF005655
	s_cbranch_scc1 label_1C10                                  // 00000000239C: BF851BE8
	s_mul_i32 s56, s85, 32                                     // 0000000023A0: 9238A055

00000000000023a4 <label_0029>:
	s_waitcnt vmcnt(0) expcnt(0) lgkmcnt(0)                    // 0000000023A4: BF8C0000
	s_barrier                                                  // 0000000023A8: BF8A0000
	s_add_u32 s30, s56, s30                                    // 0000000023AC: 801E1E38
	s_addc_u32 s31, 0, s31                                     // 0000000023B0: 821F1F80
	s_load_dword s54, s[30:31], 0x0                            // 0000000023B4: C0020D8F 00000000
	s_load_dword s87, s[30:31], 0x4                            // 0000000023BC: C00215CF 00000004
	s_load_dword s78, s[30:31], 0x8                            // 0000000023C4: C002138F 00000008
	s_load_dword s79, s[30:31], 0xc                            // 0000000023CC: C00213CF 0000000C
	s_load_dword s46, s[30:31], 0x10                           // 0000000023D4: C0020B8F 00000010
	s_load_dword s47, s[30:31], 0x14                           // 0000000023DC: C0020BCF 00000014
	s_load_dword s62, s[30:31], 0x18                           // 0000000023E4: C0020F8F 00000018
	s_load_dwordx2 s[8:9], s[0:1], 0x0                         // 0000000023EC: C0060200 00000000
	s_load_dwordx2 s[12:13], s[0:1], 0x10                      // 0000000023F4: C0060300 00000010
	s_load_dwordx2 s[16:17], s[0:1], 0x20                      // 0000000023FC: C0060400 00000020
	s_load_dwordx2 s[20:21], s[0:1], 0x30                      // 000000002404: C0060500 00000030
	s_load_dwordx2 s[40:41], s[0:1], 0x40                      // 00000000240C: C0060A00 00000040
	s_load_dwordx2 s[24:25], s[0:1], 0x50                      // 000000002414: C0060600 00000050
	s_load_dwordx2 s[92:93], s[0:1], 0x60                      // 00000000241C: C0061700 00000060
	s_load_dword s64, s[0:1], 0x70                             // 000000002424: C0021000 00000070
	s_load_dword s65, s[0:1], 0x80                             // 00000000242C: C0021040 00000080
	s_load_dword s66, s[0:1], 0xa0                             // 000000002434: C0021080 000000A0
	s_load_dword s68, s[0:1], 0xb0                             // 00000000243C: C0021100 000000B0
	s_load_dword s69, s[0:1], 0xc0                             // 000000002444: C0021140 000000C0
	s_load_dwordx2 s[88:89], s[0:1], 0xf0                      // 00000000244C: C0061600 000000F0
	s_waitcnt lgkmcnt(0)                                       // 000000002454: BF8CC07F
	s_add_u32 s56, s54, 1                                      // 000000002458: 80388136
	s_lshl_b32 s56, s56, 2                                     // 00000000245C: 8E388238
	s_and_b32 s41, s41, 0xffff                                 // 000000002460: 8629FF29 0000FFFF
	s_add_u32 s40, s40, s56                                    // 000000002468: 80283828
	s_addc_u32 s41, s41, 0                                     // 00000000246C: 82298029
	s_load_dword s55, s[40:41], 0x0                            // 000000002470: C0020DD4 00000000
	s_waitcnt lgkmcnt(0)                                       // 000000002478: BF8CC07F
	s_mov_b32 s65, 16                                          // 00000000247C: BEC10090
	s_mul_i32 s75, 0x800, s65                                  // 000000002480: 924B41FF 00000800
	s_mul_i32 s74, 0x480, s65                                  // 000000002488: 924A41FF 00000480
	s_mul_i32 s56, 4, s65                                      // 000000002490: 92384184
	s_mov_b32 s10, s75                                         // 000000002494: BE8A004B
	s_mov_b32 s18, -16                                         // 000000002498: BE9200D0
	s_mov_b32 s14, -16                                         // 00000000249C: BE8E00D0
	s_mov_b32 s22, -16                                         // 0000000024A0: BE9600D0
	s_mov_b32 s26, -16                                         // 0000000024A4: BE9A00D0
	s_mov_b32 s11, 0x20000                                     // 0000000024A8: BE8B00FF 00020000
	s_mov_b32 s91, 0x20000                                     // 0000000024B0: BEDB00FF 00020000
	s_mov_b32 s19, 0x20000                                     // 0000000024B8: BE9300FF 00020000
	s_mov_b32 s15, 0x20000                                     // 0000000024C0: BE8F00FF 00020000
	s_mov_b32 s23, 0x20000                                     // 0000000024C8: BE9700FF 00020000
	s_mov_b32 s27, 0x20000                                     // 0000000024D0: BE9B00FF 00020000
	s_and_b32 s9, s9, 0xffff                                   // 0000000024D8: 8609FF09 0000FFFF
	s_and_b32 s89, s89, 0xffff                                 // 0000000024E0: 8659FF59 0000FFFF
	s_and_b32 s17, s17, 0xffff                                 // 0000000024E8: 8611FF11 0000FFFF
	s_and_b32 s13, s13, 0xffff                                 // 0000000024F0: 860DFF0D 0000FFFF
	s_and_b32 s21, s21, 0xffff                                 // 0000000024F8: 8615FF15 0000FFFF
	s_and_b32 s25, s25, 0xffff                                 // 000000002500: 8619FF19 0000FFFF
	s_or_b32 s9, s9, 0x40000                                   // 000000002508: 8709FF09 00040000
	s_or_b32 s89, s89, 0x40000                                 // 000000002510: 8759FF59 00040000
	s_or_b32 s17, s17, 0x40000                                 // 000000002518: 8711FF11 00040000
	s_or_b32 s13, s13, 0x40000                                 // 000000002520: 870DFF0D 00040000
	s_or_b32 s21, s21, 0x40000                                 // 000000002528: 8715FF15 00040000
	s_or_b32 s25, s25, 0x40000                                 // 000000002530: 8719FF19 00040000
	s_waitcnt lgkmcnt(0)                                       // 000000002538: BF8CC07F
	s_mov_b32 s67, 1                                           // 00000000253C: BEC30081
	s_mov_b32 s80, 0                                           // 000000002540: BED00080
	s_sub_u32 s81, s79, s78                                    // 000000002544: 80D14E4F
	s_mov_b32 s44, 1                                           // 000000002548: BEAC0081
	s_mul_i32 s73, s44, 4                                      // 00000000254C: 9249842C
	s_mul_i32 s73, s73, s67                                    // 000000002550: 92494349
	s_mul_i32 s45, s4, s44                                     // 000000002554: 922D2C04
	s_sub_u32 s56, s47, s46                                    // 000000002558: 80B82E2F
	s_lshl_b32 s60, 1, s69                                     // 00000000255C: 8E3C4581
	s_cmp_eq_u32 s47, s55                                      // 000000002560: BF06372F
	s_cbranch_scc0 label_00A2                                  // 000000002564: BF840008
	s_lshl_b32 s57, s54, 2                                     // 000000002568: 8E398236
	s_and_b32 s93, s93, 0xffff                                 // 00000000256C: 865DFF5D 0000FFFF
	s_add_u32 s92, s92, s57                                    // 000000002574: 805C395C
	s_addc_u32 s93, s93, 0                                     // 000000002578: 825D805D
	s_load_dword s60, s[92:93], 0x0                            // 00000000257C: C0020F2E 00000000
	s_waitcnt lgkmcnt(0)                                       // 000000002584: BF8CC07F

0000000000002588 <label_00A2>:
	s_sub_u32 s57, s56, 1                                      // 000000002588: 80B98138
	s_lshl_b32 s57, s57, s69                                   // 00000000258C: 8E394539
	s_add_u32 s72, s57, s60                                    // 000000002590: 80483C39
	s_lshl_b32 s56, 1, s69                                     // 000000002594: 8E384581
	s_sub_u32 s56, s56, 1                                      // 000000002598: 80B88138
	s_add_u32 s56, s56, s72                                    // 00000000259C: 80384838
	s_lshr_b32 s50, s56, s69                                   // 0000000025A0: 8F324538
	s_mov_b32 s56, s72                                         // 0000000025A4: BEB80048
	s_sub_u32 s82, s56, s81                                    // 0000000025A8: 80D25138
	s_mov_b32 s58, s62                                         // 0000000025AC: BEBA003E
	s_add_u32 s82, s82, s58                                    // 0000000025B0: 80523A52
	s_add_u32 s57, s82, 8                                      // 0000000025B4: 80398852
	s_min_u32 s56, s56, s57                                    // 0000000025B8: 83B83938
	s_lshl_b32 s56, s45, s69                                   // 0000000025BC: 8E38452D
	s_add_u32 s83, s56, 15                                     // 0000000025C0: 80538F38
	s_mul_i32 s84, s67, 16                                     // 0000000025C4: 92549043
	s_cmp_le_u32 s50, s45                                      // 0000000025C8: BF0B2D32
	s_cbranch_scc1 label_1C10                                  // 0000000025CC: BF851B5C
	s_mul_i32 s56, s50, 4                                      // 0000000025D0: 92388432
	s_mov_b32 s26, s56                                         // 0000000025D4: BE9A0038
	s_mul_i32 s56, s46, 4                                      // 0000000025D8: 9238842E
	s_add_u32 s24, s56, s24                                    // 0000000025DC: 80181838
	s_addc_u32 s25, 0, s25                                     // 0000000025E0: 82191980
	s_mov_b32 s70, 0                                           // 0000000025E4: BEC60080
	s_mov_b32 s97, 0                                           // 0000000025E8: BEE10080
	s_mov_b32 s98, 1                                           // 0000000025EC: BEE20081
	s_lshr_b32 s71, s72, 4                                     // 0000000025F0: 8F478448
	s_and_b32 s48, s72, 15                                     // 0000000025F4: 86308F48
	v_lshrrev_b32_e32 v26, 4, v0                               // 0000000025F8: 20340084
	v_lshlrev_b32_e32 v10, 2, v26                              // 0000000025FC: 24143482
	v_add_u32_e64 v10, v10, s7                                 // 000000002600: D134000A 00000F0A
	v_lshrrev_b32_e32 v26, s69, v10                            // 000000002608: 20341445
	v_lshlrev_b32_e64 v27, s69, 1                              // 00000000260C: D112001B 00010245
	v_sub_u32_e64 v27, v27, 1                                  // 000000002614: D135001B 0001031B
	v_and_b32_e32 v11, v27, v10                                // 00000000261C: 2616151B
	v_add_u32_e32 v26, s45, v26                                // 000000002620: 6834342D
	v_lshlrev_b32_e32 v10, 2, v26                              // 000000002624: 24143482
	v_mul_u32_u24_e32 v11, 0x240, v11                          // 000000002628: 101616FF 00000240
	buffer_load_dword v12, v10, s[24:27], 0 offen              // 000000002630: E0501000 80060C0A
	s_cmp_eq_i32 s98, 0                                        // 000000002638: BF008062
	s_cbranch_scc0 label_00D1                                  // 00000000263C: BF840001
	v_add_u32_e32 v10, s73, v10                                // 000000002640: 68141449

0000000000002644 <label_00D1>:
	s_add_u32 s98, 1, s98                                      // 000000002644: 80626281
	s_and_b32 s98, 3, s98                                      // 000000002648: 86626283
	buffer_load_dword v13, v10, s[24:27], 0 offen              // 00000000264C: E0501000 80060D0A
	s_cmp_eq_i32 s98, 0                                        // 000000002654: BF008062
	s_cbranch_scc0 label_00D8                                  // 000000002658: BF840001
	v_add_u32_e32 v10, s73, v10                                // 00000000265C: 68141449

0000000000002660 <label_00D8>:
	s_add_u32 s98, 1, s98                                      // 000000002660: 80626281
	s_and_b32 s98, 3, s98                                      // 000000002664: 86626283
	s_add_u32 s56, s80, s78                                    // 000000002668: 80384E50
	v_mov_b32_e32 v26, s56                                     // 00000000266C: 7E340238
	v_mul_lo_u32 v27, s74, v26                                 // 000000002670: D285001B 0002344A
	v_mul_hi_u32 v28, s74, v26                                 // 000000002678: D286001C 0002344A
	s_nop 2                                                    // 000000002680: BF800002
	v_readfirstlane_b32 s56, v27                               // 000000002684: 7E70051B
	v_readfirstlane_b32 s57, v28                               // 000000002688: 7E72051C
	s_nop 4                                                    // 00000000268C: BF800004
	s_add_u32 s16, s56, s16                                    // 000000002690: 80101038
	s_addc_u32 s17, s57, s17                                   // 000000002694: 82111139
	s_sub_u32 s56, s81, s80                                    // 000000002698: 80B85051
	s_mul_i32 s56, s56, s74                                    // 00000000269C: 92384A38
	s_mov_b32 s18, s56                                         // 0000000026A0: BE920038
	s_mul_i32 s56, s7, 0x480                                   // 0000000026A4: 9238FF07 00000480
	v_lshlrev_b32_e32 v36, 2, v0                               // 0000000026AC: 24480082
	v_add_u32_e32 v36, s56, v36                                // 0000000026B0: 68484838
	s_mul_i32 s56, s7, 0x1420                                  // 0000000026B4: 9238FF07 00001420
	s_add_u32 s34, 0, s56                                      // 0000000026BC: 80223880
	s_add_u32 s35, 0x5080, s34                                 // 0000000026C0: 802322FF 00005080
	s_add_u32 s36, 0x5080, s35                                 // 0000000026C8: 802423FF 00005080
	v_lshrrev_b32_e32 v26, 4, v0                               // 0000000026D0: 20340084
	v_lshlrev_b32_e32 v27, 2, v26                              // 0000000026D4: 24363482
	v_and_b32_e32 v26, 15, v0                                  // 0000000026D8: 2634008F
	v_lshrrev_b32_e32 v28, 2, v26                              // 0000000026DC: 20383482
	v_mul_i32_i24_e32 v28, 0x140, v28                          // 0000000026E0: 0C3838FF 00000140
	v_add_u32_e32 v27, v28, v27                                // 0000000026E8: 6836371C
	v_and_b32_e32 v26, 3, v0                                   // 0000000026EC: 26340083
	v_mul_i32_i24_e32 v28, 0x508, v26                          // 0000000026F0: 0C3834FF 00000508
	v_add_u32_e32 v27, v28, v27                                // 0000000026F8: 6836371C
	v_lshlrev_b32_e32 v35, 2, v27                              // 0000000026FC: 24463682
	s_mov_b32 m0, s34                                          // 000000002700: BEFC0022
	v_add_u32_e32 v34, 0, v36                                  // 000000002704: 68444880
	buffer_load_dword v34, s[16:19], 0 offen lds               // 000000002708: E0511000 80040022
	buffer_load_dword v34, s[16:19], 0 offen offset:256 lds    // 000000002710: E0511100 80040022
	buffer_load_dword v34, s[16:19], 0 offen offset:512 lds    // 000000002718: E0511200 80040022
	buffer_load_dword v34, s[16:19], 0 offen offset:768 lds    // 000000002720: E0511300 80040022
	buffer_load_dword v34, s[16:19], 0 offen offset:1024 lds   // 000000002728: E0511400 80040022
	s_add_u32 m0, m0, 0x500                                    // 000000002730: 807CFF7C 00000500
	v_add_u32_e32 v34, 0x1200, v34                             // 000000002738: 684444FF 00001200
	buffer_load_dword v34, s[16:19], 0 offen lds               // 000000002740: E0511000 80040022
	buffer_load_dword v34, s[16:19], 0 offen offset:256 lds    // 000000002748: E0511100 80040022
	buffer_load_dword v34, s[16:19], 0 offen offset:512 lds    // 000000002750: E0511200 80040022
	buffer_load_dword v34, s[16:19], 0 offen offset:768 lds    // 000000002758: E0511300 80040022
	buffer_load_dword v34, s[16:19], 0 offen offset:1024 lds   // 000000002760: E0511400 80040022
	s_add_u32 m0, m0, 0x500                                    // 000000002768: 807CFF7C 00000500
	v_add_u32_e32 v34, 0x1200, v34                             // 000000002770: 684444FF 00001200
	buffer_load_dword v34, s[16:19], 0 offen lds               // 000000002778: E0511000 80040022
	buffer_load_dword v34, s[16:19], 0 offen offset:256 lds    // 000000002780: E0511100 80040022
	buffer_load_dword v34, s[16:19], 0 offen offset:512 lds    // 000000002788: E0511200 80040022
	buffer_load_dword v34, s[16:19], 0 offen offset:768 lds    // 000000002790: E0511300 80040022
	buffer_load_dword v34, s[16:19], 0 offen offset:1024 lds   // 000000002798: E0511400 80040022
	s_add_u32 m0, m0, 0x500                                    // 0000000027A0: 807CFF7C 00000500
	v_add_u32_e32 v34, 0x1200, v34                             // 0000000027A8: 684444FF 00001200
	buffer_load_dword v34, s[16:19], 0 offen lds               // 0000000027B0: E0511000 80040022
	buffer_load_dword v34, s[16:19], 0 offen offset:256 lds    // 0000000027B8: E0511100 80040022
	buffer_load_dword v34, s[16:19], 0 offen offset:512 lds    // 0000000027C0: E0511200 80040022
	buffer_load_dword v34, s[16:19], 0 offen offset:768 lds    // 0000000027C8: E0511300 80040022
	buffer_load_dword v34, s[16:19], 0 offen offset:1024 lds   // 0000000027D0: E0511400 80040022
	s_add_u32 m0, m0, 0x500                                    // 0000000027D8: 807CFF7C 00000500
	v_add_u32_e32 v34, 0x1200, v34                             // 0000000027E0: 684444FF 00001200
	s_mov_b32 m0, s35                                          // 0000000027E8: BEFC0023
	v_add_u32_e32 v34, 0x4800, v36                             // 0000000027EC: 684448FF 00004800
	buffer_load_dword v34, s[16:19], 0 offen lds               // 0000000027F4: E0511000 80040022
	buffer_load_dword v34, s[16:19], 0 offen offset:256 lds    // 0000000027FC: E0511100 80040022
	buffer_load_dword v34, s[16:19], 0 offen offset:512 lds    // 000000002804: E0511200 80040022
	buffer_load_dword v34, s[16:19], 0 offen offset:768 lds    // 00000000280C: E0511300 80040022
	buffer_load_dword v34, s[16:19], 0 offen offset:1024 lds   // 000000002814: E0511400 80040022
	s_add_u32 m0, m0, 0x500                                    // 00000000281C: 807CFF7C 00000500
	v_add_u32_e32 v34, 0x1200, v34                             // 000000002824: 684444FF 00001200
	buffer_load_dword v34, s[16:19], 0 offen lds               // 00000000282C: E0511000 80040022
	buffer_load_dword v34, s[16:19], 0 offen offset:256 lds    // 000000002834: E0511100 80040022
	buffer_load_dword v34, s[16:19], 0 offen offset:512 lds    // 00000000283C: E0511200 80040022
	buffer_load_dword v34, s[16:19], 0 offen offset:768 lds    // 000000002844: E0511300 80040022
	buffer_load_dword v34, s[16:19], 0 offen offset:1024 lds   // 00000000284C: E0511400 80040022
	s_add_u32 m0, m0, 0x500                                    // 000000002854: 807CFF7C 00000500
	v_add_u32_e32 v34, 0x1200, v34                             // 00000000285C: 684444FF 00001200
	buffer_load_dword v34, s[16:19], 0 offen lds               // 000000002864: E0511000 80040022
	buffer_load_dword v34, s[16:19], 0 offen offset:256 lds    // 00000000286C: E0511100 80040022
	buffer_load_dword v34, s[16:19], 0 offen offset:512 lds    // 000000002874: E0511200 80040022
	buffer_load_dword v34, s[16:19], 0 offen offset:768 lds    // 00000000287C: E0511300 80040022
	buffer_load_dword v34, s[16:19], 0 offen offset:1024 lds   // 000000002884: E0511400 80040022
	s_add_u32 m0, m0, 0x500                                    // 00000000288C: 807CFF7C 00000500
	v_add_u32_e32 v34, 0x1200, v34                             // 000000002894: 684444FF 00001200
	buffer_load_dword v34, s[16:19], 0 offen lds               // 00000000289C: E0511000 80040022
	buffer_load_dword v34, s[16:19], 0 offen offset:256 lds    // 0000000028A4: E0511100 80040022
	buffer_load_dword v34, s[16:19], 0 offen offset:512 lds    // 0000000028AC: E0511200 80040022
	buffer_load_dword v34, s[16:19], 0 offen offset:768 lds    // 0000000028B4: E0511300 80040022
	buffer_load_dword v34, s[16:19], 0 offen offset:1024 lds   // 0000000028BC: E0511400 80040022
	s_add_u32 m0, m0, 0x500                                    // 0000000028C4: 807CFF7C 00000500
	v_add_u32_e32 v34, 0x1200, v34                             // 0000000028CC: 684444FF 00001200
	s_waitcnt vmcnt(20)                                        // 0000000028D4: BF8C4F74
	s_barrier                                                  // 0000000028D8: BF8A0000
	s_mov_b32 m0, s36                                          // 0000000028DC: BEFC0024
	v_add_u32_e32 v34, 0x9000, v36                             // 0000000028E0: 684448FF 00009000
	buffer_load_dword v34, s[16:19], 0 offen lds               // 0000000028E8: E0511000 80040022
	buffer_load_dword v34, s[16:19], 0 offen offset:256 lds    // 0000000028F0: E0511100 80040022
	buffer_load_dword v34, s[16:19], 0 offen offset:512 lds    // 0000000028F8: E0511200 80040022
	buffer_load_dword v34, s[16:19], 0 offen offset:768 lds    // 000000002900: E0511300 80040022
	buffer_load_dword v34, s[16:19], 0 offen offset:1024 lds   // 000000002908: E0511400 80040022
	s_add_u32 m0, m0, 0x500                                    // 000000002910: 807CFF7C 00000500
	v_add_u32_e32 v34, 0x1200, v34                             // 000000002918: 684444FF 00001200
	buffer_load_dword v34, s[16:19], 0 offen lds               // 000000002920: E0511000 80040022
	buffer_load_dword v34, s[16:19], 0 offen offset:256 lds    // 000000002928: E0511100 80040022
	buffer_load_dword v34, s[16:19], 0 offen offset:512 lds    // 000000002930: E0511200 80040022
	buffer_load_dword v34, s[16:19], 0 offen offset:768 lds    // 000000002938: E0511300 80040022
	buffer_load_dword v34, s[16:19], 0 offen offset:1024 lds   // 000000002940: E0511400 80040022
	s_add_u32 m0, m0, 0x500                                    // 000000002948: 807CFF7C 00000500
	v_add_u32_e32 v34, 0x1200, v34                             // 000000002950: 684444FF 00001200
	buffer_load_dword v34, s[16:19], 0 offen lds               // 000000002958: E0511000 80040022
	buffer_load_dword v34, s[16:19], 0 offen offset:256 lds    // 000000002960: E0511100 80040022
	buffer_load_dword v34, s[16:19], 0 offen offset:512 lds    // 000000002968: E0511200 80040022
	buffer_load_dword v34, s[16:19], 0 offen offset:768 lds    // 000000002970: E0511300 80040022
	buffer_load_dword v34, s[16:19], 0 offen offset:1024 lds   // 000000002978: E0511400 80040022
	s_add_u32 m0, m0, 0x500                                    // 000000002980: 807CFF7C 00000500
	v_add_u32_e32 v34, 0x1200, v34                             // 000000002988: 684444FF 00001200
	buffer_load_dword v34, s[16:19], 0 offen lds               // 000000002990: E0511000 80040022
	buffer_load_dword v34, s[16:19], 0 offen offset:256 lds    // 000000002998: E0511100 80040022
	buffer_load_dword v34, s[16:19], 0 offen offset:512 lds    // 0000000029A0: E0511200 80040022
	buffer_load_dword v34, s[16:19], 0 offen offset:768 lds    // 0000000029A8: E0511300 80040022
	buffer_load_dword v34, s[16:19], 0 offen offset:1024 lds   // 0000000029B0: E0511400 80040022
	s_add_u32 m0, m0, 0x500                                    // 0000000029B8: 807CFF7C 00000500
	v_add_u32_e32 v34, 0x1200, v34                             // 0000000029C0: 684444FF 00001200
	s_cmp_eq_i32 s7, 0                                         // 0000000029C8: BF008007
	s_cbranch_scc0 label_01D9                                  // 0000000029CC: BF840025
	ds_read_b128 a[0:3], v35                                   // 0000000029D0: DBFE0000 00000023
	ds_read_b128 a[4:7], v35 offset:64                         // 0000000029D8: DBFE0040 04000023
	ds_read_b128 a[8:11], v35 offset:128                       // 0000000029E0: DBFE0080 08000023
	ds_read_b128 a[12:15], v35 offset:192                      // 0000000029E8: DBFE00C0 0C000023
	ds_read_b128 a[16:19], v35 offset:256                      // 0000000029F0: DBFE0100 10000023
	ds_read_b128 a[20:23], v35 offset:320                      // 0000000029F8: DBFE0140 14000023
	ds_read_b128 a[24:27], v35 offset:384                      // 000000002A00: DBFE0180 18000023
	ds_read_b128 a[28:31], v35 offset:448                      // 000000002A08: DBFE01C0 1C000023
	ds_read_b128 a[32:35], v35 offset:512                      // 000000002A10: DBFE0200 20000023
	ds_read_b128 a[36:39], v35 offset:576                      // 000000002A18: DBFE0240 24000023
	ds_read_b128 a[40:43], v35 offset:640                      // 000000002A20: DBFE0280 28000023
	ds_read_b128 a[44:47], v35 offset:704                      // 000000002A28: DBFE02C0 2C000023
	ds_read_b128 a[48:51], v35 offset:768                      // 000000002A30: DBFE0300 30000023
	ds_read_b128 a[52:55], v35 offset:832                      // 000000002A38: DBFE0340 34000023
	ds_read_b128 a[56:59], v35 offset:896                      // 000000002A40: DBFE0380 38000023
	ds_read_b128 a[60:63], v35 offset:960                      // 000000002A48: DBFE03C0 3C000023
	ds_read_b128 a[64:67], v35 offset:1024                     // 000000002A50: DBFE0400 40000023
	ds_read_b128 a[68:71], v35 offset:1088                     // 000000002A58: DBFE0440 44000023
	s_waitcnt lgkmcnt(0)                                       // 000000002A60: BF8CC07F

0000000000002a64 <label_01D9>:
	s_waitcnt vmcnt(20)                                        // 000000002A64: BF8C4F74
	s_barrier                                                  // 000000002A68: BF8A0000
	s_mov_b32 m0, s34                                          // 000000002A6C: BEFC0022
	v_add_u32_e32 v34, 0xd800, v36                             // 000000002A70: 684448FF 0000D800
	buffer_load_dword v34, s[16:19], 0 offen lds               // 000000002A78: E0511000 80040022
	buffer_load_dword v34, s[16:19], 0 offen offset:256 lds    // 000000002A80: E0511100 80040022
	buffer_load_dword v34, s[16:19], 0 offen offset:512 lds    // 000000002A88: E0511200 80040022
	buffer_load_dword v34, s[16:19], 0 offen offset:768 lds    // 000000002A90: E0511300 80040022
	buffer_load_dword v34, s[16:19], 0 offen offset:1024 lds   // 000000002A98: E0511400 80040022
	s_add_u32 m0, m0, 0x500                                    // 000000002AA0: 807CFF7C 00000500
	v_add_u32_e32 v34, 0x1200, v34                             // 000000002AA8: 684444FF 00001200
	buffer_load_dword v34, s[16:19], 0 offen lds               // 000000002AB0: E0511000 80040022
	buffer_load_dword v34, s[16:19], 0 offen offset:256 lds    // 000000002AB8: E0511100 80040022
	buffer_load_dword v34, s[16:19], 0 offen offset:512 lds    // 000000002AC0: E0511200 80040022
	buffer_load_dword v34, s[16:19], 0 offen offset:768 lds    // 000000002AC8: E0511300 80040022
	buffer_load_dword v34, s[16:19], 0 offen offset:1024 lds   // 000000002AD0: E0511400 80040022
	s_add_u32 m0, m0, 0x500                                    // 000000002AD8: 807CFF7C 00000500
	v_add_u32_e32 v34, 0x1200, v34                             // 000000002AE0: 684444FF 00001200
	buffer_load_dword v34, s[16:19], 0 offen lds               // 000000002AE8: E0511000 80040022
	buffer_load_dword v34, s[16:19], 0 offen offset:256 lds    // 000000002AF0: E0511100 80040022
	buffer_load_dword v34, s[16:19], 0 offen offset:512 lds    // 000000002AF8: E0511200 80040022
	buffer_load_dword v34, s[16:19], 0 offen offset:768 lds    // 000000002B00: E0511300 80040022
	buffer_load_dword v34, s[16:19], 0 offen offset:1024 lds   // 000000002B08: E0511400 80040022
	s_add_u32 m0, m0, 0x500                                    // 000000002B10: 807CFF7C 00000500
	v_add_u32_e32 v34, 0x1200, v34                             // 000000002B18: 684444FF 00001200
	buffer_load_dword v34, s[16:19], 0 offen lds               // 000000002B20: E0511000 80040022
	buffer_load_dword v34, s[16:19], 0 offen offset:256 lds    // 000000002B28: E0511100 80040022
	buffer_load_dword v34, s[16:19], 0 offen offset:512 lds    // 000000002B30: E0511200 80040022
	buffer_load_dword v34, s[16:19], 0 offen offset:768 lds    // 000000002B38: E0511300 80040022
	buffer_load_dword v34, s[16:19], 0 offen offset:1024 lds   // 000000002B40: E0511400 80040022
	s_add_u32 m0, m0, 0x500                                    // 000000002B48: 807CFF7C 00000500
	v_add_u32_e32 v34, 0x1200, v34                             // 000000002B50: 684444FF 00001200
	s_cmp_eq_i32 s7, 1                                         // 000000002B58: BF008107
	s_cbranch_scc0 label_023D                                  // 000000002B5C: BF840025
	ds_read_b128 a[0:3], v35 offset:20608                      // 000000002B60: DBFE5080 00000023
	ds_read_b128 a[4:7], v35 offset:20672                      // 000000002B68: DBFE50C0 04000023
	ds_read_b128 a[8:11], v35 offset:20736                     // 000000002B70: DBFE5100 08000023
	ds_read_b128 a[12:15], v35 offset:20800                    // 000000002B78: DBFE5140 0C000023
	ds_read_b128 a[16:19], v35 offset:20864                    // 000000002B80: DBFE5180 10000023
	ds_read_b128 a[20:23], v35 offset:20928                    // 000000002B88: DBFE51C0 14000023
	ds_read_b128 a[24:27], v35 offset:20992                    // 000000002B90: DBFE5200 18000023
	ds_read_b128 a[28:31], v35 offset:21056                    // 000000002B98: DBFE5240 1C000023
	ds_read_b128 a[32:35], v35 offset:21120                    // 000000002BA0: DBFE5280 20000023
	ds_read_b128 a[36:39], v35 offset:21184                    // 000000002BA8: DBFE52C0 24000023
	ds_read_b128 a[40:43], v35 offset:21248                    // 000000002BB0: DBFE5300 28000023
	ds_read_b128 a[44:47], v35 offset:21312                    // 000000002BB8: DBFE5340 2C000023
	ds_read_b128 a[48:51], v35 offset:21376                    // 000000002BC0: DBFE5380 30000023
	ds_read_b128 a[52:55], v35 offset:21440                    // 000000002BC8: DBFE53C0 34000023
	ds_read_b128 a[56:59], v35 offset:21504                    // 000000002BD0: DBFE5400 38000023
	ds_read_b128 a[60:63], v35 offset:21568                    // 000000002BD8: DBFE5440 3C000023
	ds_read_b128 a[64:67], v35 offset:21632                    // 000000002BE0: DBFE5480 40000023
	ds_read_b128 a[68:71], v35 offset:21696                    // 000000002BE8: DBFE54C0 44000023
	s_waitcnt lgkmcnt(0)                                       // 000000002BF0: BF8CC07F

0000000000002bf4 <label_023D>:
	s_waitcnt vmcnt(20)                                        // 000000002BF4: BF8C4F74
	s_barrier                                                  // 000000002BF8: BF8A0000
	s_cmp_eq_i32 s7, 2                                         // 000000002BFC: BF008207
	s_cbranch_scc0 label_0266                                  // 000000002C00: BF840025
	ds_read_b128 a[0:3], v35 offset:41216                      // 000000002C04: DBFEA100 00000023
	ds_read_b128 a[4:7], v35 offset:41280                      // 000000002C0C: DBFEA140 04000023
	ds_read_b128 a[8:11], v35 offset:41344                     // 000000002C14: DBFEA180 08000023
	ds_read_b128 a[12:15], v35 offset:41408                    // 000000002C1C: DBFEA1C0 0C000023
	ds_read_b128 a[16:19], v35 offset:41472                    // 000000002C24: DBFEA200 10000023
	ds_read_b128 a[20:23], v35 offset:41536                    // 000000002C2C: DBFEA240 14000023
	ds_read_b128 a[24:27], v35 offset:41600                    // 000000002C34: DBFEA280 18000023
	ds_read_b128 a[28:31], v35 offset:41664                    // 000000002C3C: DBFEA2C0 1C000023
	ds_read_b128 a[32:35], v35 offset:41728                    // 000000002C44: DBFEA300 20000023
	ds_read_b128 a[36:39], v35 offset:41792                    // 000000002C4C: DBFEA340 24000023
	ds_read_b128 a[40:43], v35 offset:41856                    // 000000002C54: DBFEA380 28000023
	ds_read_b128 a[44:47], v35 offset:41920                    // 000000002C5C: DBFEA3C0 2C000023
	ds_read_b128 a[48:51], v35 offset:41984                    // 000000002C64: DBFEA400 30000023
	ds_read_b128 a[52:55], v35 offset:42048                    // 000000002C6C: DBFEA440 34000023
	ds_read_b128 a[56:59], v35 offset:42112                    // 000000002C74: DBFEA480 38000023
	ds_read_b128 a[60:63], v35 offset:42176                    // 000000002C7C: DBFEA4C0 3C000023
	ds_read_b128 a[64:67], v35 offset:42240                    // 000000002C84: DBFEA500 40000023
	ds_read_b128 a[68:71], v35 offset:42304                    // 000000002C8C: DBFEA540 44000023
	s_waitcnt lgkmcnt(0)                                       // 000000002C94: BF8CC07F

0000000000002c98 <label_0266>:
	s_waitcnt vmcnt(0)                                         // 000000002C98: BF8C0F70
	s_barrier                                                  // 000000002C9C: BF8A0000
	s_cmp_eq_i32 s7, 3                                         // 000000002CA0: BF008307
	s_cbranch_scc0 label_028F                                  // 000000002CA4: BF840025
	ds_read_b128 a[0:3], v35                                   // 000000002CA8: DBFE0000 00000023
	ds_read_b128 a[4:7], v35 offset:64                         // 000000002CB0: DBFE0040 04000023
	ds_read_b128 a[8:11], v35 offset:128                       // 000000002CB8: DBFE0080 08000023
	ds_read_b128 a[12:15], v35 offset:192                      // 000000002CC0: DBFE00C0 0C000023
	ds_read_b128 a[16:19], v35 offset:256                      // 000000002CC8: DBFE0100 10000023
	ds_read_b128 a[20:23], v35 offset:320                      // 000000002CD0: DBFE0140 14000023
	ds_read_b128 a[24:27], v35 offset:384                      // 000000002CD8: DBFE0180 18000023
	ds_read_b128 a[28:31], v35 offset:448                      // 000000002CE0: DBFE01C0 1C000023
	ds_read_b128 a[32:35], v35 offset:512                      // 000000002CE8: DBFE0200 20000023
	ds_read_b128 a[36:39], v35 offset:576                      // 000000002CF0: DBFE0240 24000023
	ds_read_b128 a[40:43], v35 offset:640                      // 000000002CF8: DBFE0280 28000023
	ds_read_b128 a[44:47], v35 offset:704                      // 000000002D00: DBFE02C0 2C000023
	ds_read_b128 a[48:51], v35 offset:768                      // 000000002D08: DBFE0300 30000023
	ds_read_b128 a[52:55], v35 offset:832                      // 000000002D10: DBFE0340 34000023
	ds_read_b128 a[56:59], v35 offset:896                      // 000000002D18: DBFE0380 38000023
	ds_read_b128 a[60:63], v35 offset:960                      // 000000002D20: DBFE03C0 3C000023
	ds_read_b128 a[64:67], v35 offset:1024                     // 000000002D28: DBFE0400 40000023
	ds_read_b128 a[68:71], v35 offset:1088                     // 000000002D30: DBFE0440 44000023
	s_waitcnt lgkmcnt(0)                                       // 000000002D38: BF8CC07F

0000000000002d3c <label_028F>:
	s_waitcnt vmcnt(0)                                         // 000000002D3C: BF8C0F70
	s_barrier                                                  // 000000002D40: BF8A0000
	s_mov_b32 s52, 0x7060302                                   // 000000002D44: BEB400FF 07060302
	s_mov_b32 s53, 0x5040100                                   // 000000002D4C: BEB500FF 05040100
	s_mov_b32 s6, 0x3fb8aa3b                                   // 000000002D54: BE8600FF 3FB8AA3B
	v_mov_b32_e32 v27, s6                                      // 000000002D5C: 7E360206
	v_mov_b32_e32 v26, s64                                     // 000000002D60: 7E340240
	v_mul_f32_e32 v26, s6, v26                                 // 000000002D64: 0A343406
	v_rcp_f32_e32 v27, v27                                     // 000000002D68: 7E36451B
	v_mov_b32_e32 v16, 0xff7fffff                              // 000000002D6C: 7E2002FF FF7FFFFF
	v_mov_b32_e32 v17, 0xff7fffff                              // 000000002D74: 7E2202FF FF7FFFFF
	v_mov_b32_e32 v20, 0                                       // 000000002D7C: 7E280280
	v_mov_b32_e32 v21, 0                                       // 000000002D80: 7E2A0280
	v_mov_b32_e32 v18, 0                                       // 000000002D84: 7E240280
	v_mov_b32_e32 v19, 0                                       // 000000002D88: 7E260280
	v_mov_b32_e32 v14, s68                                     // 000000002D8C: 7E1C0244
	v_readfirstlane_b32 s5, v26                                // 000000002D90: 7E0A051A
	v_readfirstlane_b32 s63, v27                               // 000000002D94: 7E7E051B
	v_and_b32_e32 v4, 15, v0                                   // 000000002D98: 2608008F
	v_lshlrev_b32_e32 v4, 2, v4                                // 000000002D9C: 24080882
	s_mul_i32 s56, 0x100, s7                                   // 000000002DA0: 923807FF 00000100
	v_add_u32_e32 v4, s56, v4                                  // 000000002DA8: 68080838
	v_lshlrev_b32_e32 v5, 2, v0                                // 000000002DAC: 240A0082
	s_mul_i32 s56, 0x100, s7                                   // 000000002DB0: 923807FF 00000100
	v_add_u32_e32 v5, s56, v5                                  // 000000002DB8: 680A0A38
	v_and_b32_e32 v26, 31, v0                                  // 000000002DBC: 2634009F
	v_lshlrev_b32_e32 v26, 3, v26                              // 000000002DC0: 24343483
	v_lshrrev_b32_e32 v27, 5, v0                               // 000000002DC4: 20360085
	v_mul_i32_i24_e32 v27, 0x900, v27                          // 000000002DC8: 0C3636FF 00000900
	v_add_u32_e32 v26, v27, v26                                // 000000002DD0: 6834351B
	s_mul_i32 s56, 0x1220, s7                                  // 000000002DD4: 923807FF 00001220
	v_add_u32_e32 v182, s56, v26                               // 000000002DDC: 696C3438
	v_and_b32_e32 v26, 15, v0                                  // 000000002DE0: 2634008F
	v_lshlrev_b32_e32 v1, 2, v26                               // 000000002DE4: 24023482
	v_lshlrev_b32_e32 v2, 3, v26                               // 000000002DE8: 24043483
	v_lshlrev_b32_e32 v3, 2, v26                               // 000000002DEC: 24063482
	v_lshrrev_b32_e32 v26, 4, v0                               // 000000002DF0: 20340084
	v_lshlrev_b32_e32 v26, 2, v26                              // 000000002DF4: 24343482
	v_add_u32_e32 v26, s7, v26                                 // 000000002DF8: 68343407
	v_mul_u32_u24_e32 v27, 0x200, v26                          // 000000002DFC: 103634FF 00000200
	v_add_u32_e32 v1, v27, v1                                  // 000000002E04: 6802031B
	v_mul_u32_u24_e32 v27, 0x80, v26                           // 000000002E08: 103634FF 00000080
	v_add_u32_e32 v2, v27, v2                                  // 000000002E10: 6804051B
	v_add_u32_e32 v2, 0x8400, v2                               // 000000002E14: 680404FF 00008400
	v_mul_u32_u24_e32 v27, 16, v26                             // 000000002E1C: 10363490
	v_add_u32_e32 v3, v27, v3                                  // 000000002E20: 6806071B
	v_add_u32_e32 v3, 0x8000, v3                               // 000000002E24: 680606FF 00008000
	s_mul_i32 s34, s7, 0x1220                                  // 000000002E2C: 9222FF07 00001220
	s_add_u32 s34, 0, s34                                      // 000000002E34: 80222280
	s_add_u32 s35, 0x900, s34                                  // 000000002E38: 802322FF 00000900
	s_add_u32 s36, 0x4880, s34                                 // 000000002E40: 802422FF 00004880
	s_add_u32 s37, 0x4880, s35                                 // 000000002E48: 802523FF 00004880
	s_waitcnt vmcnt(0)                                         // 000000002E50: BF8C0F70
	v_mov_b32_e32 v35, 0xffff0000                              // 000000002E54: 7E4602FF FFFF0000
	v_mov_b32_e32 v36, 0x7fff0000                              // 000000002E5C: 7E4802FF 7FFF0000
	v_mov_b32_e32 v37, 0x7fff                                  // 000000002E64: 7E4A02FF 00007FFF
	v_mul_u32_u24_e32 v26, v12, v14                            // 000000002E6C: 10341D0C
	v_add_u32_e32 v22, v26, v1                                 // 000000002E70: 682C031A
	v_add_u32_e32 v23, v26, v2                                 // 000000002E74: 682E051A
	v_add_u32_e32 v24, v26, v3                                 // 000000002E78: 6830071A
	v_lshlrev_b32_e64 v26, 13, s97                             // 000000002E7C: D112001A 0000C28D
	v_add_u32_e32 v22, v26, v22                                // 000000002E84: 682C2D1A
	v_lshlrev_b32_e64 v26, 11, s97                             // 000000002E88: D112001A 0000C28B
	v_add_u32_e32 v23, v26, v23                                // 000000002E90: 682E2F1A
	v_lshlrev_b32_e64 v26, 8, s97                              // 000000002E94: D112001A 0000C288
	v_add_u32_e32 v24, v26, v24                                // 000000002E9C: 6830311A
	s_add_u32 s97, 1, s97                                      // 000000002EA0: 80616181
	s_and_b32 s97, 3, s97                                      // 000000002EA4: 86616183
	s_mov_b32 m0, s35                                          // 000000002EA8: BEFC0023
	buffer_load_dword v192, v22, s[20:23], 0 offen             // 000000002EAC: E0501000 8005C016
	buffer_load_dword v193, v22, s[20:23], 0 offen offset:64   // 000000002EB4: E0501040 8005C116
	buffer_load_dword v194, v22, s[20:23], 0 offen offset:128  // 000000002EBC: E0501080 8005C216
	buffer_load_dword v195, v22, s[20:23], 0 offen offset:192  // 000000002EC4: E05010C0 8005C316
	buffer_load_dword v196, v22, s[20:23], 0 offen offset:256  // 000000002ECC: E0501100 8005C416
	buffer_load_dword v197, v22, s[20:23], 0 offen offset:320  // 000000002ED4: E0501140 8005C516
	buffer_load_dword v198, v22, s[20:23], 0 offen offset:384  // 000000002EDC: E0501180 8005C616
	buffer_load_dword v199, v22, s[20:23], 0 offen offset:448  // 000000002EE4: E05011C0 8005C716
	buffer_load_dwordx2 v[200:201], v23, s[20:23], 0 offen     // 000000002EEC: E0541000 8005C817
	buffer_load_dword v232, v24, s[20:23], 0 offen             // 000000002EF4: E0501000 8005E818
	s_waitcnt vmcnt(0)                                         // 000000002EFC: BF8C0F70
	v_mov_b32_e32 v228, v192                                   // 000000002F00: 7FC803C0
	v_cvt_pk_f32_fp8_sdwa v[228:229], v192 src0_sel:WORD_0     // 000000002F04: 7FC8ACF9 000406C0
	v_cvt_pk_f32_fp8_sdwa v[230:231], v192 src0_sel:WORD_1     // 000000002F0C: 7FCCACF9 000506C0
	v_mul_f32_dpp v228, v232, v228 row_newbcast:0 row_mask:0xf bank_mask:0xf// 000000002F14: 0BC9C8FA FF0150E8
	v_mul_f32_dpp v229, v232, v229 row_newbcast:0 row_mask:0xf bank_mask:0xf// 000000002F1C: 0BCBCAFA FF0150E8
	v_mul_f32_dpp v230, v232, v230 row_newbcast:0 row_mask:0xf bank_mask:0xf// 000000002F24: 0BCDCCFA FF0150E8
	v_mul_f32_dpp v231, v232, v231 row_newbcast:0 row_mask:0xf bank_mask:0xf// 000000002F2C: 0BCFCEFA FF0150E8
	v_perm_b32 v184, v229, v228, s52                           // 000000002F34: D1ED00B8 00D3C9E5
	v_perm_b32 v185, v231, v230, s52                           // 000000002F3C: D1ED00B9 00D3CDE7
	v_mov_b32_e32 v228, v193                                   // 000000002F44: 7FC803C1
	v_cvt_pk_f32_fp8_sdwa v[228:229], v193 src0_sel:WORD_0     // 000000002F48: 7FC8ACF9 000406C1
	v_cvt_pk_f32_fp8_sdwa v[230:231], v193 src0_sel:WORD_1     // 000000002F50: 7FCCACF9 000506C1
	v_mul_f32_dpp v228, v232, v228 row_newbcast:0 row_mask:0xf bank_mask:0xf// 000000002F58: 0BC9C8FA FF0150E8
	v_mul_f32_dpp v229, v232, v229 row_newbcast:0 row_mask:0xf bank_mask:0xf// 000000002F60: 0BCBCAFA FF0150E8
	v_mul_f32_dpp v230, v232, v230 row_newbcast:0 row_mask:0xf bank_mask:0xf// 000000002F68: 0BCDCCFA FF0150E8
	v_mul_f32_dpp v231, v232, v231 row_newbcast:0 row_mask:0xf bank_mask:0xf// 000000002F70: 0BCFCEFA FF0150E8
	v_perm_b32 v186, v229, v228, s52                           // 000000002F78: D1ED00BA 00D3C9E5
	v_perm_b32 v187, v231, v230, s52                           // 000000002F80: D1ED00BB 00D3CDE7
	v_mov_b32_e32 v228, v194                                   // 000000002F88: 7FC803C2
	v_cvt_pk_f32_fp8_sdwa v[228:229], v194 src0_sel:WORD_0     // 000000002F8C: 7FC8ACF9 000406C2
	v_cvt_pk_f32_fp8_sdwa v[230:231], v194 src0_sel:WORD_1     // 000000002F94: 7FCCACF9 000506C2
	v_mul_f32_dpp v228, v232, v228 row_newbcast:1 row_mask:0xf bank_mask:0xf// 000000002F9C: 0BC9C8FA FF0151E8
	v_mul_f32_dpp v229, v232, v229 row_newbcast:1 row_mask:0xf bank_mask:0xf// 000000002FA4: 0BCBCAFA FF0151E8
	v_mul_f32_dpp v230, v232, v230 row_newbcast:1 row_mask:0xf bank_mask:0xf// 000000002FAC: 0BCDCCFA FF0151E8
	v_mul_f32_dpp v231, v232, v231 row_newbcast:1 row_mask:0xf bank_mask:0xf// 000000002FB4: 0BCFCEFA FF0151E8
	v_perm_b32 v188, v229, v228, s52                           // 000000002FBC: D1ED00BC 00D3C9E5
	v_perm_b32 v189, v231, v230, s52                           // 000000002FC4: D1ED00BD 00D3CDE7
	v_mov_b32_e32 v228, v195                                   // 000000002FCC: 7FC803C3
	v_cvt_pk_f32_fp8_sdwa v[228:229], v195 src0_sel:WORD_0     // 000000002FD0: 7FC8ACF9 000406C3
	v_cvt_pk_f32_fp8_sdwa v[230:231], v195 src0_sel:WORD_1     // 000000002FD8: 7FCCACF9 000506C3
	v_mul_f32_dpp v228, v232, v228 row_newbcast:1 row_mask:0xf bank_mask:0xf// 000000002FE0: 0BC9C8FA FF0151E8
	v_mul_f32_dpp v229, v232, v229 row_newbcast:1 row_mask:0xf bank_mask:0xf// 000000002FE8: 0BCBCAFA FF0151E8
	v_mul_f32_dpp v230, v232, v230 row_newbcast:1 row_mask:0xf bank_mask:0xf// 000000002FF0: 0BCDCCFA FF0151E8
	v_mul_f32_dpp v231, v232, v231 row_newbcast:1 row_mask:0xf bank_mask:0xf// 000000002FF8: 0BCFCEFA FF0151E8
	v_perm_b32 v190, v229, v228, s52                           // 000000003000: D1ED00BE 00D3C9E5
	v_perm_b32 v191, v231, v230, s52                           // 000000003008: D1ED00BF 00D3CDE7
	v_mov_b32_e32 v228, v196                                   // 000000003010: 7FC803C4
	v_cvt_pk_f32_fp8_sdwa v[228:229], v196 src0_sel:WORD_0     // 000000003014: 7FC8ACF9 000406C4
	v_cvt_pk_f32_fp8_sdwa v[230:231], v196 src0_sel:WORD_1     // 00000000301C: 7FCCACF9 000506C4
	v_mul_f32_dpp v228, v232, v228 row_newbcast:2 row_mask:0xf bank_mask:0xf// 000000003024: 0BC9C8FA FF0152E8
	v_mul_f32_dpp v229, v232, v229 row_newbcast:2 row_mask:0xf bank_mask:0xf// 00000000302C: 0BCBCAFA FF0152E8
	v_mul_f32_dpp v230, v232, v230 row_newbcast:2 row_mask:0xf bank_mask:0xf// 000000003034: 0BCDCCFA FF0152E8
	v_mul_f32_dpp v231, v232, v231 row_newbcast:2 row_mask:0xf bank_mask:0xf// 00000000303C: 0BCFCEFA FF0152E8
	v_perm_b32 v192, v229, v228, s52                           // 000000003044: D1ED00C0 00D3C9E5
	v_perm_b32 v193, v231, v230, s52                           // 00000000304C: D1ED00C1 00D3CDE7
	v_mov_b32_e32 v228, v197                                   // 000000003054: 7FC803C5
	v_cvt_pk_f32_fp8_sdwa v[228:229], v197 src0_sel:WORD_0     // 000000003058: 7FC8ACF9 000406C5
	v_cvt_pk_f32_fp8_sdwa v[230:231], v197 src0_sel:WORD_1     // 000000003060: 7FCCACF9 000506C5
	v_mul_f32_dpp v228, v232, v228 row_newbcast:2 row_mask:0xf bank_mask:0xf// 000000003068: 0BC9C8FA FF0152E8
	v_mul_f32_dpp v229, v232, v229 row_newbcast:2 row_mask:0xf bank_mask:0xf// 000000003070: 0BCBCAFA FF0152E8
	v_mul_f32_dpp v230, v232, v230 row_newbcast:2 row_mask:0xf bank_mask:0xf// 000000003078: 0BCDCCFA FF0152E8
	v_mul_f32_dpp v231, v232, v231 row_newbcast:2 row_mask:0xf bank_mask:0xf// 000000003080: 0BCFCEFA FF0152E8
	v_perm_b32 v194, v229, v228, s52                           // 000000003088: D1ED00C2 00D3C9E5
	v_perm_b32 v195, v231, v230, s52                           // 000000003090: D1ED00C3 00D3CDE7
	v_mov_b32_e32 v228, v198                                   // 000000003098: 7FC803C6
	v_cvt_pk_f32_fp8_sdwa v[228:229], v198 src0_sel:WORD_0     // 00000000309C: 7FC8ACF9 000406C6
	v_cvt_pk_f32_fp8_sdwa v[230:231], v198 src0_sel:WORD_1     // 0000000030A4: 7FCCACF9 000506C6
	v_mul_f32_dpp v228, v232, v228 row_newbcast:3 row_mask:0xf bank_mask:0xf// 0000000030AC: 0BC9C8FA FF0153E8
	v_mul_f32_dpp v229, v232, v229 row_newbcast:3 row_mask:0xf bank_mask:0xf// 0000000030B4: 0BCBCAFA FF0153E8
	v_mul_f32_dpp v230, v232, v230 row_newbcast:3 row_mask:0xf bank_mask:0xf// 0000000030BC: 0BCDCCFA FF0153E8
	v_mul_f32_dpp v231, v232, v231 row_newbcast:3 row_mask:0xf bank_mask:0xf// 0000000030C4: 0BCFCEFA FF0153E8
	v_perm_b32 v196, v229, v228, s52                           // 0000000030CC: D1ED00C4 00D3C9E5
	v_perm_b32 v197, v231, v230, s52                           // 0000000030D4: D1ED00C5 00D3CDE7
	v_mov_b32_e32 v228, v199                                   // 0000000030DC: 7FC803C7
	v_cvt_pk_f32_fp8_sdwa v[228:229], v199 src0_sel:WORD_0     // 0000000030E0: 7FC8ACF9 000406C7
	v_cvt_pk_f32_fp8_sdwa v[230:231], v199 src0_sel:WORD_1     // 0000000030E8: 7FCCACF9 000506C7
	v_mul_f32_dpp v228, v232, v228 row_newbcast:3 row_mask:0xf bank_mask:0xf// 0000000030F0: 0BC9C8FA FF0153E8
	v_mul_f32_dpp v229, v232, v229 row_newbcast:3 row_mask:0xf bank_mask:0xf// 0000000030F8: 0BCBCAFA FF0153E8
	v_mul_f32_dpp v230, v232, v230 row_newbcast:3 row_mask:0xf bank_mask:0xf// 000000003100: 0BCDCCFA FF0153E8
	v_mul_f32_dpp v231, v232, v231 row_newbcast:3 row_mask:0xf bank_mask:0xf// 000000003108: 0BCFCEFA FF0153E8
	v_perm_b32 v198, v229, v228, s52                           // 000000003110: D1ED00C6 00D3C9E5
	v_perm_b32 v199, v231, v230, s52                           // 000000003118: D1ED00C7 00D3CDE7
	ds_write_b64 v182, v[184:185]                              // 000000003120: D89A0000 0000B8B6
	ds_write_b64 v182, v[186:187] offset:256                   // 000000003128: D89A0100 0000BAB6
	ds_write_b64 v182, v[188:189] offset:512                   // 000000003130: D89A0200 0000BCB6
	ds_write_b64 v182, v[190:191] offset:768                   // 000000003138: D89A0300 0000BEB6
	ds_write_b64 v182, v[192:193] offset:1024                  // 000000003140: D89A0400 0000C0B6
	ds_write_b64 v182, v[194:195] offset:1280                  // 000000003148: D89A0500 0000C2B6
	ds_write_b64 v182, v[196:197] offset:1536                  // 000000003150: D89A0600 0000C4B6
	ds_write_b64 v182, v[198:199] offset:1792                  // 000000003158: D89A0700 0000C6B6
	ds_write_b64 v182, v[200:201] offset:2048                  // 000000003160: D89A0800 0000C8B6
	buffer_load_dword v12, v10, s[24:27], 0 offen              // 000000003168: E0501000 80060C0A
	s_cmp_eq_i32 s98, 0                                        // 000000003170: BF008062
	s_cbranch_scc0 label_039F                                  // 000000003174: BF840001
	v_add_u32_e32 v10, s73, v10                                // 000000003178: 68141449

000000000000317c <label_039F>:
	s_add_u32 s98, 1, s98                                      // 00000000317C: 80626281
	s_and_b32 s98, 3, s98                                      // 000000003180: 86626283
	v_mov_b32_e32 v46, 0                                       // 000000003184: 7E5C0280
	v_mov_b32_e32 v47, 0                                       // 000000003188: 7E5E0280
	v_mov_b32_e32 v48, 0                                       // 00000000318C: 7E600280
	v_mov_b32_e32 v49, 0                                       // 000000003190: 7E620280
	v_mov_b32_e32 v50, 0                                       // 000000003194: 7E640280
	v_mov_b32_e32 v51, 0                                       // 000000003198: 7E660280
	v_mov_b32_e32 v52, 0                                       // 00000000319C: 7E680280
	v_mov_b32_e32 v53, 0                                       // 0000000031A0: 7E6A0280
	v_mov_b32_e32 v54, 0                                       // 0000000031A4: 7E6C0280
	v_mov_b32_e32 v55, 0                                       // 0000000031A8: 7E6E0280
	v_mov_b32_e32 v56, 0                                       // 0000000031AC: 7E700280
	v_mov_b32_e32 v57, 0                                       // 0000000031B0: 7E720280
	v_mov_b32_e32 v58, 0                                       // 0000000031B4: 7E740280
	v_mov_b32_e32 v59, 0                                       // 0000000031B8: 7E760280
	v_mov_b32_e32 v60, 0                                       // 0000000031BC: 7E780280
	v_mov_b32_e32 v61, 0                                       // 0000000031C0: 7E7A0280
	v_mov_b32_e32 v62, 0                                       // 0000000031C4: 7E7C0280
	v_mov_b32_e32 v63, 0                                       // 0000000031C8: 7E7E0280
	v_mov_b32_e32 v64, 0                                       // 0000000031CC: 7E800280
	v_mov_b32_e32 v65, 0                                       // 0000000031D0: 7E820280
	v_mov_b32_e32 v66, 0                                       // 0000000031D4: 7E840280
	v_mov_b32_e32 v67, 0                                       // 0000000031D8: 7E860280
	v_mov_b32_e32 v68, 0                                       // 0000000031DC: 7E880280
	v_mov_b32_e32 v69, 0                                       // 0000000031E0: 7E8A0280
	v_mov_b32_e32 v70, 0                                       // 0000000031E4: 7E8C0280
	v_mov_b32_e32 v71, 0                                       // 0000000031E8: 7E8E0280
	v_mov_b32_e32 v72, 0                                       // 0000000031EC: 7E900280
	v_mov_b32_e32 v73, 0                                       // 0000000031F0: 7E920280
	v_mov_b32_e32 v74, 0                                       // 0000000031F4: 7E940280
	v_mov_b32_e32 v75, 0                                       // 0000000031F8: 7E960280
	v_mov_b32_e32 v76, 0                                       // 0000000031FC: 7E980280
	v_mov_b32_e32 v77, 0                                       // 000000003200: 7E9A0280
	v_mov_b32_e32 v78, 0                                       // 000000003204: 7E9C0280
	v_mov_b32_e32 v79, 0                                       // 000000003208: 7E9E0280
	v_mov_b32_e32 v80, 0                                       // 00000000320C: 7EA00280
	v_mov_b32_e32 v81, 0                                       // 000000003210: 7EA20280
	v_mov_b32_e32 v82, 0                                       // 000000003214: 7EA40280
	v_mov_b32_e32 v83, 0                                       // 000000003218: 7EA60280
	v_mov_b32_e32 v84, 0                                       // 00000000321C: 7EA80280
	v_mov_b32_e32 v85, 0                                       // 000000003220: 7EAA0280
	v_mov_b32_e32 v86, 0                                       // 000000003224: 7EAC0280
	v_mov_b32_e32 v87, 0                                       // 000000003228: 7EAE0280
	v_mov_b32_e32 v88, 0                                       // 00000000322C: 7EB00280
	v_mov_b32_e32 v89, 0                                       // 000000003230: 7EB20280
	v_mov_b32_e32 v90, 0                                       // 000000003234: 7EB40280
	v_mov_b32_e32 v91, 0                                       // 000000003238: 7EB60280
	v_mov_b32_e32 v92, 0                                       // 00000000323C: 7EB80280
	v_mov_b32_e32 v93, 0                                       // 000000003240: 7EBA0280
	v_mov_b32_e32 v94, 0                                       // 000000003244: 7EBC0280
	v_mov_b32_e32 v95, 0                                       // 000000003248: 7EBE0280
	v_mov_b32_e32 v96, 0                                       // 00000000324C: 7EC00280
	v_mov_b32_e32 v97, 0                                       // 000000003250: 7EC20280
	v_mov_b32_e32 v98, 0                                       // 000000003254: 7EC40280
	v_mov_b32_e32 v99, 0                                       // 000000003258: 7EC60280
	v_mov_b32_e32 v100, 0                                      // 00000000325C: 7EC80280
	v_mov_b32_e32 v101, 0                                      // 000000003260: 7ECA0280
	v_mov_b32_e32 v102, 0                                      // 000000003264: 7ECC0280
	v_mov_b32_e32 v103, 0                                      // 000000003268: 7ECE0280
	v_mov_b32_e32 v104, 0                                      // 00000000326C: 7ED00280
	v_mov_b32_e32 v105, 0                                      // 000000003270: 7ED20280
	v_mov_b32_e32 v106, 0                                      // 000000003274: 7ED40280
	v_mov_b32_e32 v107, 0                                      // 000000003278: 7ED60280
	v_mov_b32_e32 v108, 0                                      // 00000000327C: 7ED80280
	v_mov_b32_e32 v109, 0                                      // 000000003280: 7EDA0280
	v_mov_b32_e32 v110, 0                                      // 000000003284: 7EDC0280
	v_mov_b32_e32 v111, 0                                      // 000000003288: 7EDE0280
	v_mov_b32_e32 v112, 0                                      // 00000000328C: 7EE00280
	v_mov_b32_e32 v113, 0                                      // 000000003290: 7EE20280
	v_mov_b32_e32 v114, 0                                      // 000000003294: 7EE40280
	v_mov_b32_e32 v115, 0                                      // 000000003298: 7EE60280
	v_mov_b32_e32 v116, 0                                      // 00000000329C: 7EE80280
	v_mov_b32_e32 v117, 0                                      // 0000000032A0: 7EEA0280
	v_mov_b32_e32 v118, 0                                      // 0000000032A4: 7EEC0280
	v_mov_b32_e32 v119, 0                                      // 0000000032A8: 7EEE0280
	v_mov_b32_e32 v120, 0                                      // 0000000032AC: 7EF00280
	v_mov_b32_e32 v121, 0                                      // 0000000032B0: 7EF20280
	v_mov_b32_e32 v122, 0                                      // 0000000032B4: 7EF40280
	v_mov_b32_e32 v123, 0                                      // 0000000032B8: 7EF60280
	v_mov_b32_e32 v124, 0                                      // 0000000032BC: 7EF80280
	v_mov_b32_e32 v125, 0                                      // 0000000032C0: 7EFA0280
	v_mov_b32_e32 v126, 0                                      // 0000000032C4: 7EFC0280
	v_mov_b32_e32 v127, 0                                      // 0000000032C8: 7EFE0280
	v_mov_b32_e32 v128, 0                                      // 0000000032CC: 7F000280
	v_mov_b32_e32 v129, 0                                      // 0000000032D0: 7F020280
	v_mov_b32_e32 v130, 0                                      // 0000000032D4: 7F040280
	v_mov_b32_e32 v131, 0                                      // 0000000032D8: 7F060280
	v_mov_b32_e32 v132, 0                                      // 0000000032DC: 7F080280
	v_mov_b32_e32 v133, 0                                      // 0000000032E0: 7F0A0280
	v_mov_b32_e32 v134, 0                                      // 0000000032E4: 7F0C0280
	v_mov_b32_e32 v135, 0                                      // 0000000032E8: 7F0E0280
	v_mov_b32_e32 v136, 0                                      // 0000000032EC: 7F100280
	v_mov_b32_e32 v137, 0                                      // 0000000032F0: 7F120280
	v_mov_b32_e32 v138, 0                                      // 0000000032F4: 7F140280
	v_mov_b32_e32 v139, 0                                      // 0000000032F8: 7F160280
	v_mov_b32_e32 v140, 0                                      // 0000000032FC: 7F180280
	v_mov_b32_e32 v141, 0                                      // 000000003300: 7F1A0280
	v_mov_b32_e32 v142, 0                                      // 000000003304: 7F1C0280
	v_mov_b32_e32 v143, 0                                      // 000000003308: 7F1E0280
	v_mov_b32_e32 v144, 0                                      // 00000000330C: 7F200280
	v_mov_b32_e32 v145, 0                                      // 000000003310: 7F220280
	v_mov_b32_e32 v146, 0                                      // 000000003314: 7F240280
	v_mov_b32_e32 v147, 0                                      // 000000003318: 7F260280
	v_mov_b32_e32 v148, 0                                      // 00000000331C: 7F280280
	v_mov_b32_e32 v149, 0                                      // 000000003320: 7F2A0280
	v_mov_b32_e32 v150, 0                                      // 000000003324: 7F2C0280
	v_mov_b32_e32 v151, 0                                      // 000000003328: 7F2E0280
	v_mov_b32_e32 v152, 0                                      // 00000000332C: 7F300280
	v_mov_b32_e32 v153, 0                                      // 000000003330: 7F320280
	v_mov_b32_e32 v154, 0                                      // 000000003334: 7F340280
	v_mov_b32_e32 v155, 0                                      // 000000003338: 7F360280
	v_mov_b32_e32 v156, 0                                      // 00000000333C: 7F380280
	v_mov_b32_e32 v157, 0                                      // 000000003340: 7F3A0280
	v_mov_b32_e32 v158, 0                                      // 000000003344: 7F3C0280
	v_mov_b32_e32 v159, 0                                      // 000000003348: 7F3E0280
	v_mov_b32_e32 v160, 0                                      // 00000000334C: 7F400280
	v_mov_b32_e32 v161, 0                                      // 000000003350: 7F420280
	v_mov_b32_e32 v162, 0                                      // 000000003354: 7F440280
	v_mov_b32_e32 v163, 0                                      // 000000003358: 7F460280
	v_mov_b32_e32 v164, 0                                      // 00000000335C: 7F480280
	v_mov_b32_e32 v165, 0                                      // 000000003360: 7F4A0280
	v_mov_b32_e32 v166, 0                                      // 000000003364: 7F4C0280
	v_mov_b32_e32 v167, 0                                      // 000000003368: 7F4E0280
	v_mov_b32_e32 v168, 0                                      // 00000000336C: 7F500280
	v_mov_b32_e32 v169, 0                                      // 000000003370: 7F520280
	v_mov_b32_e32 v170, 0                                      // 000000003374: 7F540280
	v_mov_b32_e32 v171, 0                                      // 000000003378: 7F560280
	v_mov_b32_e32 v172, 0                                      // 00000000337C: 7F580280
	v_mov_b32_e32 v173, 0                                      // 000000003380: 7F5A0280
	v_lshrrev_b32_e32 v26, 4, v0                               // 000000003384: 20340084
	v_mul_i32_i24_e32 v27, 4, v26                              // 000000003388: 0C363484
	v_and_b32_e32 v26, 15, v0                                  // 00000000338C: 2634008F
	v_and_b32_e32 v28, 3, v26                                  // 000000003390: 26383483
	v_mul_i32_i24_e32 v28, 0x488, v28                          // 000000003394: 0C3838FF 00000488
	v_add_u32_e32 v6, v28, v27                                 // 00000000339C: 680C371C
	v_lshrrev_b32_e32 v26, 2, v26                              // 0000000033A0: 20343482
	v_and_b32_e32 v27, 1, v26                                  // 0000000033A4: 26363481
	v_mul_i32_i24_e32 v27, 32, v27                             // 0000000033A8: 0C3636A0
	v_add_u32_e32 v6, v6, v27                                  // 0000000033AC: 680C3706
	v_and_b32_e32 v27, 2, v26                                  // 0000000033B0: 26363482
	v_mul_i32_i24_e32 v27, 0x120, v27                          // 0000000033B4: 0C3636FF 00000120
	v_add_u32_e32 v6, v6, v27                                  // 0000000033BC: 680C3706
	v_lshlrev_b32_e32 v6, 2, v6                                // 0000000033C0: 240C0C82
	v_lshrrev_b32_e32 v26, 4, v0                               // 0000000033C4: 20340084
	v_and_b32_e32 v27, 1, v26                                  // 0000000033C8: 26363481
	v_mul_i32_i24_e32 v7, 32, v27                              // 0000000033CC: 0C0E36A0
	v_and_b32_e32 v27, 2, v26                                  // 0000000033D0: 26363482
	v_mul_i32_i24_e32 v27, 0x120, v27                          // 0000000033D4: 0C3636FF 00000120
	v_add_u32_e32 v7, v7, v27                                  // 0000000033DC: 680E3707
	v_and_b32_e32 v26, 15, v0                                  // 0000000033E0: 2634008F
	v_mul_i32_i24_e32 v27, 2, v26                              // 0000000033E4: 0C363482
	v_add_u32_e32 v7, v7, v27                                  // 0000000033E8: 680E3707
	s_mul_i32 s56, 64, s7                                      // 0000000033EC: 923807C0
	v_add_u32_e64 v7, v7, s56                                  // 0000000033F0: D1340007 00007107
	v_lshlrev_b32_e32 v7, 2, v7                                // 0000000033F8: 240E0E82
	v_lshlrev_b32_e32 v8, 2, v0                                // 0000000033FC: 24100082
	s_mul_i32 s56, 0x200, s7                                   // 000000003400: 923807FF 00000200
	v_add_u32_e64 v8, v8, s56                                  // 000000003408: D1340008 00007108
	v_lshlrev_b32_e32 v8, 2, v8                                // 000000003410: 24101082
	v_lshlrev_b32_e32 v9, 4, v0                                // 000000003414: 24120084
	v_mul_u32_u24_e32 v26, v13, v14                            // 000000003418: 10341D0D
	v_add_u32_e32 v22, v26, v1                                 // 00000000341C: 682C031A
	v_add_u32_e32 v23, v26, v2                                 // 000000003420: 682E051A
	v_add_u32_e32 v24, v26, v3                                 // 000000003424: 6830071A
	v_lshlrev_b32_e64 v26, 13, s97                             // 000000003428: D112001A 0000C28D
	v_add_u32_e32 v22, v26, v22                                // 000000003430: 682C2D1A
	v_lshlrev_b32_e64 v26, 11, s97                             // 000000003434: D112001A 0000C28B
	v_add_u32_e32 v23, v26, v23                                // 00000000343C: 682E2F1A
	v_lshlrev_b32_e64 v26, 8, s97                              // 000000003440: D112001A 0000C288
	v_add_u32_e32 v24, v26, v24                                // 000000003448: 6830311A
	s_add_u32 s97, 1, s97                                      // 00000000344C: 80616181
	s_and_b32 s97, 3, s97                                      // 000000003450: 86616183
	s_mov_b32 m0, s37                                          // 000000003454: BEFC0025
	buffer_load_dword v13, v10, s[24:27], 0 offen              // 000000003458: E0501000 80060D0A
	s_cmp_eq_i32 s98, 0                                        // 000000003460: BF008062
	s_cbranch_scc0 label_045B                                  // 000000003464: BF840001
	v_add_u32_e32 v10, s73, v10                                // 000000003468: 68141449

000000000000346c <label_045B>:
	s_add_u32 s98, 1, s98                                      // 00000000346C: 80626281
	s_and_b32 s98, 3, s98                                      // 000000003470: 86626283
	buffer_load_dword v210, v22, s[20:23], 0 offen             // 000000003474: E0501000 8005D216
	buffer_load_dword v211, v22, s[20:23], 0 offen offset:64   // 00000000347C: E0501040 8005D316
	buffer_load_dword v212, v22, s[20:23], 0 offen offset:128  // 000000003484: E0501080 8005D416
	buffer_load_dword v213, v22, s[20:23], 0 offen offset:192  // 00000000348C: E05010C0 8005D516
	buffer_load_dword v214, v22, s[20:23], 0 offen offset:256  // 000000003494: E0501100 8005D616
	buffer_load_dword v215, v22, s[20:23], 0 offen offset:320  // 00000000349C: E0501140 8005D716
	buffer_load_dword v216, v22, s[20:23], 0 offen offset:384  // 0000000034A4: E0501180 8005D816
	buffer_load_dword v217, v22, s[20:23], 0 offen offset:448  // 0000000034AC: E05011C0 8005D916
	buffer_load_dwordx2 v[218:219], v23, s[20:23], 0 offen     // 0000000034B4: E0541000 8005DA17
	buffer_load_dword v233, v24, s[20:23], 0 offen             // 0000000034BC: E0501000 8005E918
	s_waitcnt vmcnt(11) lgkmcnt(0)                             // 0000000034C4: BF8C007B
	s_barrier                                                  // 0000000034C8: BF8A0000
	v_mul_u32_u24_e32 v26, v12, v14                            // 0000000034CC: 10341D0C
	v_add_u32_e32 v22, v26, v1                                 // 0000000034D0: 682C031A
	v_add_u32_e32 v23, v26, v2                                 // 0000000034D4: 682E051A
	v_add_u32_e32 v24, v26, v3                                 // 0000000034D8: 6830071A
	v_lshlrev_b32_e64 v26, 13, s97                             // 0000000034DC: D112001A 0000C28D
	v_add_u32_e32 v22, v26, v22                                // 0000000034E4: 682C2D1A
	v_lshlrev_b32_e64 v26, 11, s97                             // 0000000034E8: D112001A 0000C28B
	v_add_u32_e32 v23, v26, v23                                // 0000000034F0: 682E2F1A
	v_lshlrev_b32_e64 v26, 8, s97                              // 0000000034F4: D112001A 0000C288
	v_add_u32_e32 v24, v26, v24                                // 0000000034FC: 6830311A
	s_add_u32 s97, 1, s97                                      // 000000003500: 80616181
	s_and_b32 s97, 3, s97                                      // 000000003504: 86616183
	s_mov_b32 m0, s35                                          // 000000003508: BEFC0023
	ds_read_b128 a[144:147], v6                                // 00000000350C: DBFE0000 90000006
	ds_read_b128 a[148:151], v6 offset:64                      // 000000003514: DBFE0040 94000006
	ds_read_b128 a[152:155], v6 offset:256                     // 00000000351C: DBFE0100 98000006
	ds_read_b128 a[156:159], v6 offset:320                     // 000000003524: DBFE0140 9C000006
	ds_read_b128 a[160:163], v6 offset:512                     // 00000000352C: DBFE0200 A0000006
	ds_read_b128 a[164:167], v6 offset:576                     // 000000003534: DBFE0240 A4000006
	ds_read_b128 a[168:171], v6 offset:768                     // 00000000353C: DBFE0300 A8000006
	ds_read_b128 a[172:175], v6 offset:832                     // 000000003544: DBFE0340 AC000006
	ds_read_b128 a[176:179], v6 offset:1024                    // 00000000354C: DBFE0400 B0000006
	ds_read_b128 a[180:183], v6 offset:1088                    // 000000003554: DBFE0440 B4000006
	ds_read_b128 a[184:187], v6 offset:1280                    // 00000000355C: DBFE0500 B8000006
	ds_read_b128 a[188:191], v6 offset:1344                    // 000000003564: DBFE0540 BC000006
	ds_read_b128 a[192:195], v6 offset:1536                    // 00000000356C: DBFE0600 C0000006
	ds_read_b128 a[196:199], v6 offset:1600                    // 000000003574: DBFE0640 C4000006
	ds_read_b128 a[200:203], v6 offset:1792                    // 00000000357C: DBFE0700 C8000006
	ds_read_b128 a[204:207], v6 offset:1856                    // 000000003584: DBFE0740 CC000006
	ds_read_b128 a[208:211], v6 offset:2048                    // 00000000358C: DBFE0800 D0000006
	ds_read_b128 a[212:215], v6 offset:2112                    // 000000003594: DBFE0840 D4000006
	ds_read_b64 v[26:27], v7                                   // 00000000359C: D8EC0000 1A000007
	ds_read_b64 v[28:29], v7 offset:4640                       // 0000000035A4: D8EC1220 1C000007
	ds_read_b64 v[30:31], v7 offset:9280                       // 0000000035AC: D8EC2440 1E000007
	ds_read_b64 v[32:33], v7 offset:13920                      // 0000000035B4: D8EC3660 20000007
	s_waitcnt lgkmcnt(0)                                       // 0000000035BC: BF8CC07F
	v_perm_b32 v174, v28, v26, s53                             // 0000000035C0: D1ED00AE 00D6351C
	v_perm_b32 v176, v28, v26, s52                             // 0000000035C8: D1ED00B0 00D2351C
	v_perm_b32 v175, v32, v30, s53                             // 0000000035D0: D1ED00AF 00D63D20
	v_perm_b32 v177, v32, v30, s52                             // 0000000035D8: D1ED00B1 00D23D20
	ds_write_b128 v8, v[174:177] offset:37120                  // 0000000035E0: D9BE9100 0000AE08
	v_perm_b32 v174, v29, v27, s53                             // 0000000035E8: D1ED00AE 00D6371D
	v_perm_b32 v176, v29, v27, s52                             // 0000000035F0: D1ED00B0 00D2371D
	v_perm_b32 v175, v33, v31, s53                             // 0000000035F8: D1ED00AF 00D63F21
	v_perm_b32 v177, v33, v31, s52                             // 000000003600: D1ED00B1 00D23F21
	ds_write_b128 v8, v[174:177] offset:38144                  // 000000003608: D9BE9500 0000AE08
	ds_read_b64 v[26:27], v7 offset:1024                       // 000000003610: D8EC0400 1A000007
	ds_read_b64 v[28:29], v7 offset:5664                       // 000000003618: D8EC1620 1C000007
	ds_read_b64 v[30:31], v7 offset:10304                      // 000000003620: D8EC2840 1E000007
	ds_read_b64 v[32:33], v7 offset:14944                      // 000000003628: D8EC3A60 20000007
	s_waitcnt lgkmcnt(0)                                       // 000000003630: BF8CC07F
	v_perm_b32 v174, v28, v26, s53                             // 000000003634: D1ED00AE 00D6351C
	v_perm_b32 v176, v28, v26, s52                             // 00000000363C: D1ED00B0 00D2351C
	v_perm_b32 v175, v32, v30, s53                             // 000000003644: D1ED00AF 00D63D20
	v_perm_b32 v177, v32, v30, s52                             // 00000000364C: D1ED00B1 00D23D20
	ds_write_b128 v8, v[174:177] offset:45312                  // 000000003654: D9BEB100 0000AE08
	v_perm_b32 v174, v29, v27, s53                             // 00000000365C: D1ED00AE 00D6371D
	v_perm_b32 v176, v29, v27, s52                             // 000000003664: D1ED00B0 00D2371D
	v_perm_b32 v175, v33, v31, s53                             // 00000000366C: D1ED00AF 00D63F21
	v_perm_b32 v177, v33, v31, s52                             // 000000003674: D1ED00B1 00D23F21
	ds_write_b128 v8, v[174:177] offset:46336                  // 00000000367C: D9BEB500 0000AE08
	s_nop 0                                                    // 000000003684: BF800000
	s_cmp_lt_u32 s71, 1                                        // 000000003688: BF0A8147
	s_cbranch_scc1 label_1089                                  // 00000000368C: BF850BA5
	s_cmp_lt_i32 s7, 2                                         // 000000003690: BF048207
	s_cbranch_scc0 label_0AB8                                  // 000000003694: BF8405D2

0000000000003698 <label_04E6>:
	s_waitcnt lgkmcnt(4)                                       // 000000003698: BF8CC47F
	s_waitcnt vmcnt(0)                                         // 00000000369C: BF8C0F70
	v_mfma_f32_16x16x16_bf16 v[38:41], a[144:145], a[0:1], 0   // 0000000036A0: D3E10026 1A020190
	s_barrier                                                  // 0000000036A8: BF8A0000
	ds_read_b128 a[176:179], v6 offset:1024                    // 0000000036AC: DBFE0400 B0000006
	ds_read_b128 a[180:183], v6 offset:1088                    // 0000000036B4: DBFE0440 B4000006
	v_mfma_f32_16x16x16_bf16 v[38:41], a[146:147], a[2:3], v[38:41]// 0000000036BC: D3E10026 1C9A0592
	buffer_load_dword v12, v10, s[24:27], 0 offen              // 0000000036C4: E0501000 80060C0A
	v_mfma_f32_16x16x16_bf16 v[38:41], a[148:149], a[4:5], v[38:41]// 0000000036CC: D3E10026 1C9A0994
	v_mov_b32_e32 v228, v210                                   // 0000000036D4: 7FC803D2
	v_cvt_pk_f32_fp8_sdwa v[228:229], v210 src0_sel:WORD_0     // 0000000036D8: 7FC8ACF9 000406D2
	v_cvt_pk_f32_fp8_sdwa v[230:231], v210 src0_sel:WORD_1     // 0000000036E0: 7FCCACF9 000506D2
	v_mul_f32_dpp v228, v233, v228 row_newbcast:0 row_mask:0xf bank_mask:0xf// 0000000036E8: 0BC9C8FA FF0150E9
	v_mul_f32_dpp v229, v233, v229 row_newbcast:0 row_mask:0xf bank_mask:0xf// 0000000036F0: 0BCBCAFA FF0150E9
	v_mul_f32_dpp v230, v233, v230 row_newbcast:0 row_mask:0xf bank_mask:0xf// 0000000036F8: 0BCDCCFA FF0150E9
	v_mul_f32_dpp v231, v233, v231 row_newbcast:0 row_mask:0xf bank_mask:0xf// 000000003700: 0BCFCEFA FF0150E9
	v_perm_b32 v202, v229, v228, s52                           // 000000003708: D1ED00CA 00D3C9E5
	v_perm_b32 v203, v231, v230, s52                           // 000000003710: D1ED00CB 00D3CDE7
	v_mfma_f32_16x16x16_bf16 v[38:41], a[150:151], a[6:7], v[38:41]// 000000003718: D3E10026 1C9A0D96
	v_mov_b32_e32 v228, v211                                   // 000000003720: 7FC803D3
	v_cvt_pk_f32_fp8_sdwa v[228:229], v211 src0_sel:WORD_0     // 000000003724: 7FC8ACF9 000406D3
	v_cvt_pk_f32_fp8_sdwa v[230:231], v211 src0_sel:WORD_1     // 00000000372C: 7FCCACF9 000506D3
	v_mul_f32_dpp v228, v233, v228 row_newbcast:0 row_mask:0xf bank_mask:0xf// 000000003734: 0BC9C8FA FF0150E9
	v_mul_f32_dpp v229, v233, v229 row_newbcast:0 row_mask:0xf bank_mask:0xf// 00000000373C: 0BCBCAFA FF0150E9
	v_mul_f32_dpp v230, v233, v230 row_newbcast:0 row_mask:0xf bank_mask:0xf// 000000003744: 0BCDCCFA FF0150E9
	v_mul_f32_dpp v231, v233, v231 row_newbcast:0 row_mask:0xf bank_mask:0xf// 00000000374C: 0BCFCEFA FF0150E9
	v_perm_b32 v204, v229, v228, s52                           // 000000003754: D1ED00CC 00D3C9E5
	v_perm_b32 v205, v231, v230, s52                           // 00000000375C: D1ED00CD 00D3CDE7
	v_mfma_f32_16x16x16_bf16 v[38:41], a[152:153], a[8:9], v[38:41]// 000000003764: D3E10026 1C9A1198
	s_barrier                                                  // 00000000376C: BF8A0000
	ds_read_b128 a[184:187], v6 offset:1280                    // 000000003770: DBFE0500 B8000006
	ds_read_b128 a[188:191], v6 offset:1344                    // 000000003778: DBFE0540 BC000006
	v_mfma_f32_16x16x16_bf16 v[38:41], a[154:155], a[10:11], v[38:41]// 000000003780: D3E10026 1C9A159A
	v_mfma_f32_16x16x16_bf16 v[38:41], a[156:157], a[12:13], v[38:41]// 000000003788: D3E10026 1C9A199C
	v_mov_b32_e32 v228, v212                                   // 000000003790: 7FC803D4
	v_cvt_pk_f32_fp8_sdwa v[228:229], v212 src0_sel:WORD_0     // 000000003794: 7FC8ACF9 000406D4
	v_cvt_pk_f32_fp8_sdwa v[230:231], v212 src0_sel:WORD_1     // 00000000379C: 7FCCACF9 000506D4
	v_mul_f32_dpp v228, v233, v228 row_newbcast:1 row_mask:0xf bank_mask:0xf// 0000000037A4: 0BC9C8FA FF0151E9
	v_mul_f32_dpp v229, v233, v229 row_newbcast:1 row_mask:0xf bank_mask:0xf// 0000000037AC: 0BCBCAFA FF0151E9
	v_mul_f32_dpp v230, v233, v230 row_newbcast:1 row_mask:0xf bank_mask:0xf// 0000000037B4: 0BCDCCFA FF0151E9
	v_mul_f32_dpp v231, v233, v231 row_newbcast:1 row_mask:0xf bank_mask:0xf// 0000000037BC: 0BCFCEFA FF0151E9
	v_perm_b32 v206, v229, v228, s52                           // 0000000037C4: D1ED00CE 00D3C9E5
	v_perm_b32 v207, v231, v230, s52                           // 0000000037CC: D1ED00CF 00D3CDE7
	v_mfma_f32_16x16x16_bf16 v[38:41], a[158:159], a[14:15], v[38:41]// 0000000037D4: D3E10026 1C9A1D9E
	s_waitcnt lgkmcnt(4)                                       // 0000000037DC: BF8CC47F
	v_mfma_f32_16x16x16_bf16 v[38:41], a[160:161], a[16:17], v[38:41]// 0000000037E0: D3E10026 1C9A21A0
	s_barrier                                                  // 0000000037E8: BF8A0000
	ds_read_b128 a[192:195], v6 offset:1536                    // 0000000037EC: DBFE0600 C0000006
	ds_read_b128 a[196:199], v6 offset:1600                    // 0000000037F4: DBFE0640 C4000006
	v_mfma_f32_16x16x16_bf16 v[38:41], a[162:163], a[18:19], v[38:41]// 0000000037FC: D3E10026 1C9A25A2
	v_mfma_f32_16x16x16_bf16 v[38:41], a[164:165], a[20:21], v[38:41]// 000000003804: D3E10026 1C9A29A4
	v_mov_b32_e32 v228, v213                                   // 00000000380C: 7FC803D5
	v_cvt_pk_f32_fp8_sdwa v[228:229], v213 src0_sel:WORD_0     // 000000003810: 7FC8ACF9 000406D5
	v_cvt_pk_f32_fp8_sdwa v[230:231], v213 src0_sel:WORD_1     // 000000003818: 7FCCACF9 000506D5
	v_mul_f32_dpp v228, v233, v228 row_newbcast:1 row_mask:0xf bank_mask:0xf// 000000003820: 0BC9C8FA FF0151E9
	v_mul_f32_dpp v229, v233, v229 row_newbcast:1 row_mask:0xf bank_mask:0xf// 000000003828: 0BCBCAFA FF0151E9
	v_mul_f32_dpp v230, v233, v230 row_newbcast:1 row_mask:0xf bank_mask:0xf// 000000003830: 0BCDCCFA FF0151E9
	v_mul_f32_dpp v231, v233, v231 row_newbcast:1 row_mask:0xf bank_mask:0xf// 000000003838: 0BCFCEFA FF0151E9
	v_perm_b32 v208, v229, v228, s52                           // 000000003840: D1ED00D0 00D3C9E5
	v_perm_b32 v209, v231, v230, s52                           // 000000003848: D1ED00D1 00D3CDE7
	v_mfma_f32_16x16x16_bf16 v[38:41], a[166:167], a[22:23], v[38:41]// 000000003850: D3E10026 1C9A2DA6
	v_mov_b32_e32 v228, v214                                   // 000000003858: 7FC803D6
	v_cvt_pk_f32_fp8_sdwa v[228:229], v214 src0_sel:WORD_0     // 00000000385C: 7FC8ACF9 000406D6
	v_cvt_pk_f32_fp8_sdwa v[230:231], v214 src0_sel:WORD_1     // 000000003864: 7FCCACF9 000506D6
	v_mul_f32_dpp v228, v233, v228 row_newbcast:2 row_mask:0xf bank_mask:0xf// 00000000386C: 0BC9C8FA FF0152E9
	v_mul_f32_dpp v229, v233, v229 row_newbcast:2 row_mask:0xf bank_mask:0xf// 000000003874: 0BCBCAFA FF0152E9
	v_mul_f32_dpp v230, v233, v230 row_newbcast:2 row_mask:0xf bank_mask:0xf// 00000000387C: 0BCDCCFA FF0152E9
	v_mul_f32_dpp v231, v233, v231 row_newbcast:2 row_mask:0xf bank_mask:0xf// 000000003884: 0BCFCEFA FF0152E9
	v_perm_b32 v210, v229, v228, s52                           // 00000000388C: D1ED00D2 00D3C9E5
	v_perm_b32 v211, v231, v230, s52                           // 000000003894: D1ED00D3 00D3CDE7
	v_mfma_f32_16x16x16_bf16 v[38:41], a[168:169], a[24:25], v[38:41]// 00000000389C: D3E10026 1C9A31A8
	s_barrier                                                  // 0000000038A4: BF8A0000
	ds_read_b128 a[200:203], v6 offset:1792                    // 0000000038A8: DBFE0700 C8000006
	ds_read_b128 a[204:207], v6 offset:1856                    // 0000000038B0: DBFE0740 CC000006
	v_mfma_f32_16x16x16_bf16 v[38:41], a[170:171], a[26:27], v[38:41]// 0000000038B8: D3E10026 1C9A35AA
	v_mfma_f32_16x16x16_bf16 v[38:41], a[172:173], a[28:29], v[38:41]// 0000000038C0: D3E10026 1C9A39AC
	v_mov_b32_e32 v228, v215                                   // 0000000038C8: 7FC803D7
	v_cvt_pk_f32_fp8_sdwa v[228:229], v215 src0_sel:WORD_0     // 0000000038CC: 7FC8ACF9 000406D7
	v_cvt_pk_f32_fp8_sdwa v[230:231], v215 src0_sel:WORD_1     // 0000000038D4: 7FCCACF9 000506D7
	v_mul_f32_dpp v228, v233, v228 row_newbcast:2 row_mask:0xf bank_mask:0xf// 0000000038DC: 0BC9C8FA FF0152E9
	v_mul_f32_dpp v229, v233, v229 row_newbcast:2 row_mask:0xf bank_mask:0xf// 0000000038E4: 0BCBCAFA FF0152E9
	v_mul_f32_dpp v230, v233, v230 row_newbcast:2 row_mask:0xf bank_mask:0xf// 0000000038EC: 0BCDCCFA FF0152E9
	v_mul_f32_dpp v231, v233, v231 row_newbcast:2 row_mask:0xf bank_mask:0xf// 0000000038F4: 0BCFCEFA FF0152E9
	v_perm_b32 v212, v229, v228, s52                           // 0000000038FC: D1ED00D4 00D3C9E5
	v_perm_b32 v213, v231, v230, s52                           // 000000003904: D1ED00D5 00D3CDE7
	v_mfma_f32_16x16x16_bf16 v[38:41], a[174:175], a[30:31], v[38:41]// 00000000390C: D3E10026 1C9A3DAE
	s_waitcnt lgkmcnt(4)                                       // 000000003914: BF8CC47F
	s_barrier                                                  // 000000003918: BF8A0000
	v_mfma_f32_16x16x16_bf16 v[38:41], a[176:177], a[32:33], v[38:41]// 00000000391C: D3E10026 1C9A41B0
	s_barrier                                                  // 000000003924: BF8A0000
	ds_read_b128 a[208:211], v6 offset:2048                    // 000000003928: DBFE0800 D0000006
	ds_read_b128 a[212:215], v6 offset:2112                    // 000000003930: DBFE0840 D4000006
	v_mfma_f32_16x16x16_bf16 v[38:41], a[178:179], a[34:35], v[38:41]// 000000003938: D3E10026 1C9A45B2
	v_mov_b32_e32 v228, v216                                   // 000000003940: 7FC803D8
	v_cvt_pk_f32_fp8_sdwa v[228:229], v216 src0_sel:WORD_0     // 000000003944: 7FC8ACF9 000406D8
	v_cvt_pk_f32_fp8_sdwa v[230:231], v216 src0_sel:WORD_1     // 00000000394C: 7FCCACF9 000506D8
	v_mul_f32_dpp v228, v233, v228 row_newbcast:3 row_mask:0xf bank_mask:0xf// 000000003954: 0BC9C8FA FF0153E9
	v_mul_f32_dpp v229, v233, v229 row_newbcast:3 row_mask:0xf bank_mask:0xf// 00000000395C: 0BCBCAFA FF0153E9
	v_mul_f32_dpp v230, v233, v230 row_newbcast:3 row_mask:0xf bank_mask:0xf// 000000003964: 0BCDCCFA FF0153E9
	v_mul_f32_dpp v231, v233, v231 row_newbcast:3 row_mask:0xf bank_mask:0xf// 00000000396C: 0BCFCEFA FF0153E9
	v_perm_b32 v214, v229, v228, s52                           // 000000003974: D1ED00D6 00D3C9E5
	v_perm_b32 v215, v231, v230, s52                           // 00000000397C: D1ED00D7 00D3CDE7
	buffer_load_dword v192, v22, s[20:23], 0 offen             // 000000003984: E0501000 8005C016
	v_mfma_f32_16x16x16_bf16 v[38:41], a[180:181], a[36:37], v[38:41]// 00000000398C: D3E10026 1C9A49B4
	v_perm_b32 v174, v28, v26, s53                             // 000000003994: D1ED00AE 00D6351C
	v_perm_b32 v176, v28, v26, s52                             // 00000000399C: D1ED00B0 00D2351C
	v_perm_b32 v175, v32, v30, s53                             // 0000000039A4: D1ED00AF 00D63D20
	v_perm_b32 v177, v32, v30, s52                             // 0000000039AC: D1ED00B1 00D23D20
	v_mfma_f32_16x16x16_bf16 v[38:41], a[182:183], a[38:39], v[38:41]// 0000000039B4: D3E10026 1C9A4DB6
	buffer_load_dword v193, v22, s[20:23], 0 offen offset:64   // 0000000039BC: E0501040 8005C116
	v_mfma_f32_16x16x16_bf16 v[38:41], a[184:185], a[40:41], v[38:41]// 0000000039C4: D3E10026 1C9A51B8
	s_barrier                                                  // 0000000039CC: BF8A0000
	ds_write_b128 v8, v[174:177] offset:45312                  // 0000000039D0: D9BEB100 0000AE08
	v_mfma_f32_16x16x16_bf16 v[38:41], a[186:187], a[42:43], v[38:41]// 0000000039D8: D3E10026 1C9A55BA
	buffer_load_dword v194, v22, s[20:23], 0 offen offset:128  // 0000000039E0: E0501080 8005C216
	v_mfma_f32_16x16x16_bf16 v[38:41], a[188:189], a[44:45], v[38:41]// 0000000039E8: D3E10026 1C9A59BC
	v_perm_b32 v174, v29, v27, s53                             // 0000000039F0: D1ED00AE 00D6371D
	v_perm_b32 v176, v29, v27, s52                             // 0000000039F8: D1ED00B0 00D2371D
	v_perm_b32 v175, v33, v31, s53                             // 000000003A00: D1ED00AF 00D63F21
	v_perm_b32 v177, v33, v31, s52                             // 000000003A08: D1ED00B1 00D23F21
	v_mfma_f32_16x16x16_bf16 v[38:41], a[190:191], a[46:47], v[38:41]// 000000003A10: D3E10026 1C9A5DBE
	buffer_load_dword v195, v22, s[20:23], 0 offen offset:192  // 000000003A18: E05010C0 8005C316
	s_waitcnt lgkmcnt(1)                                       // 000000003A20: BF8CC17F
	s_barrier                                                  // 000000003A24: BF8A0000
	v_mfma_f32_16x16x16_bf16 v[38:41], a[192:193], a[48:49], v[38:41]// 000000003A28: D3E10026 1C9A61C0
	s_barrier                                                  // 000000003A30: BF8A0000
	ds_write_b128 v8, v[174:177] offset:46336                  // 000000003A34: D9BEB500 0000AE08
	v_mfma_f32_16x16x16_bf16 v[38:41], a[194:195], a[50:51], v[38:41]// 000000003A3C: D3E10026 1C9A65C2
	buffer_load_dword v196, v22, s[20:23], 0 offen offset:256  // 000000003A44: E0501100 8005C416
	v_mfma_f32_16x16x16_bf16 v[38:41], a[196:197], a[52:53], v[38:41]// 000000003A4C: D3E10026 1C9A69C4
	v_mov_b32_e32 v228, v217                                   // 000000003A54: 7FC803D9
	v_cvt_pk_f32_fp8_sdwa v[228:229], v217 src0_sel:WORD_0     // 000000003A58: 7FC8ACF9 000406D9
	v_cvt_pk_f32_fp8_sdwa v[230:231], v217 src0_sel:WORD_1     // 000000003A60: 7FCCACF9 000506D9
	v_mul_f32_dpp v228, v233, v228 row_newbcast:3 row_mask:0xf bank_mask:0xf// 000000003A68: 0BC9C8FA FF0153E9
	v_mul_f32_dpp v229, v233, v229 row_newbcast:3 row_mask:0xf bank_mask:0xf// 000000003A70: 0BCBCAFA FF0153E9
	v_mul_f32_dpp v230, v233, v230 row_newbcast:3 row_mask:0xf bank_mask:0xf// 000000003A78: 0BCDCCFA FF0153E9
	v_mul_f32_dpp v231, v233, v231 row_newbcast:3 row_mask:0xf bank_mask:0xf// 000000003A80: 0BCFCEFA FF0153E9
	v_perm_b32 v216, v229, v228, s52                           // 000000003A88: D1ED00D8 00D3C9E5
	v_perm_b32 v217, v231, v230, s52                           // 000000003A90: D1ED00D9 00D3CDE7
	v_mfma_f32_16x16x16_bf16 v[38:41], a[198:199], a[54:55], v[38:41]// 000000003A98: D3E10026 1C9A6DC6
	buffer_load_dword v197, v22, s[20:23], 0 offen offset:320  // 000000003AA0: E0501140 8005C516
	v_mfma_f32_16x16x16_bf16 v[38:41], a[200:201], a[56:57], v[38:41]// 000000003AA8: D3E10026 1C9A71C8
	s_barrier                                                  // 000000003AB0: BF8A0000
	v_mfma_f32_16x16x16_bf16 v[38:41], a[202:203], a[58:59], v[38:41]// 000000003AB4: D3E10026 1C9A75CA
	buffer_load_dword v198, v22, s[20:23], 0 offen offset:384  // 000000003ABC: E0501180 8005C616
	v_mfma_f32_16x16x16_bf16 v[38:41], a[204:205], a[60:61], v[38:41]// 000000003AC4: D3E10026 1C9A79CC
	v_mfma_f32_16x16x16_bf16 v[38:41], a[206:207], a[62:63], v[38:41]// 000000003ACC: D3E10026 1C9A7DCE
	buffer_load_dword v199, v22, s[20:23], 0 offen offset:448  // 000000003AD4: E05011C0 8005C716
	v_mfma_f32_16x16x16_bf16 v[38:41], a[208:209], a[64:65], v[38:41]// 000000003ADC: D3E10026 1C9A81D0
	s_barrier                                                  // 000000003AE4: BF8A0000
	v_mfma_f32_16x16x16_bf16 v[38:41], a[210:211], a[66:67], v[38:41]// 000000003AE8: D3E10026 1C9A85D2
	buffer_load_dwordx2 v[200:201], v23, s[20:23], 0 offen     // 000000003AF0: E0541000 8005C817
	v_mfma_f32_16x16x16_bf16 v[38:41], a[212:213], a[68:69], v[38:41]// 000000003AF8: D3E10026 1C9A89D4
	v_mfma_f32_16x16x16_bf16 v[38:41], a[214:215], a[70:71], v[38:41]// 000000003B00: D3E10026 1C9A8DD6
	buffer_load_dword v232, v24, s[20:23], 0 offen             // 000000003B08: E0501000 8005E818
	s_cmp_eq_i32 s98, 0                                        // 000000003B10: BF008062
	s_cbranch_scc0 label_0607                                  // 000000003B14: BF840001
	v_add_u32_e32 v10, s73, v10                                // 000000003B18: 68141449

0000000000003b1c <label_0607>:
	s_add_u32 s98, 1, s98                                      // 000000003B1C: 80626281
	s_and_b32 s98, 3, s98                                      // 000000003B20: 86626283
	s_cmp_le_i32 s83, s82                                      // 000000003B24: BF055253
	s_cbranch_scc1 label_062F                                  // 000000003B28: BF850024
	v_mov_b32_e32 v31, 0xff800000                              // 000000003B2C: 7E3E02FF FF800000
	s_add_u32 s57, s82, 0                                      // 000000003B34: 80398052
	v_mov_b32_e32 v30, s57                                     // 000000003B38: 7E3C0239
	v_add_u32_e32 v30, s7, v30                                 // 000000003B3C: 683C3C07
	s_sub_u32 s56, s83, 15                                     // 000000003B40: 80B88F53
	v_lshrrev_b32_e32 v26, 4, v0                               // 000000003B44: 20340084
	v_mul_i32_i24_e32 v26, 4, v26                              // 000000003B48: 0C343484
	v_add_u32_e32 v26, s56, v26                                // 000000003B4C: 68343438
	v_add_u32_e32 v27, 1, v26                                  // 000000003B50: 68363481
	v_add_u32_e32 v28, 2, v26                                  // 000000003B54: 68383482
	v_add_u32_e32 v29, 3, v26                                  // 000000003B58: 683A3483
	v_cmp_le_u32_e64 s[38:39], v26, v30                        // 000000003B5C: D0CB0026 00023D1A
	v_add_u32_e32 v26, 64, v26                                 // 000000003B64: 683434C0
	s_nop 0                                                    // 000000003B68: BF800000
	v_cndmask_b32_e64 v38, v31, v38, s[38:39]                  // 000000003B6C: D1000026 009A4D1F
	v_cmp_le_u32_e64 s[38:39], v27, v30                        // 000000003B74: D0CB0026 00023D1B
	v_add_u32_e32 v27, 64, v27                                 // 000000003B7C: 683636C0
	s_nop 0                                                    // 000000003B80: BF800000
	v_cndmask_b32_e64 v39, v31, v39, s[38:39]                  // 000000003B84: D1000027 009A4F1F
	v_cmp_le_u32_e64 s[38:39], v28, v30                        // 000000003B8C: D0CB0026 00023D1C
	v_add_u32_e32 v28, 64, v28                                 // 000000003B94: 683838C0
	s_nop 0                                                    // 000000003B98: BF800000
	v_cndmask_b32_e64 v40, v31, v40, s[38:39]                  // 000000003B9C: D1000028 009A511F
	v_cmp_le_u32_e64 s[38:39], v29, v30                        // 000000003BA4: D0CB0026 00023D1D
	v_add_u32_e32 v29, 64, v29                                 // 000000003BAC: 683A3AC0
	s_nop 0                                                    // 000000003BB0: BF800000
	v_cndmask_b32_e64 v41, v31, v41, s[38:39]                  // 000000003BB4: D1000029 009A531F

0000000000003bbc <label_062F>:
	s_waitcnt lgkmcnt(0)                                       // 000000003BBC: BF8CC07F
	s_barrier                                                  // 000000003BC0: BF8A0000
	v_max3_f32 v30, v38, v39, v38                              // 000000003BC4: D1D3001E 049A4F26
	v_max3_f32 v30, v40, v41, v30                              // 000000003BCC: D1D3001E 047A5328
	ds_write_b32 v5, v30 offset:53504                          // 000000003BD4: D81AD100 00001E05
	s_waitcnt lgkmcnt(0)                                       // 000000003BDC: BF8CC07F
	ds_read_b32 v26, v4 offset:53504                           // 000000003BE0: D86CD100 1A000004
	ds_read_b32 v27, v4 offset:53568                           // 000000003BE8: D86CD140 1B000004
	ds_read_b32 v28, v4 offset:53632                           // 000000003BF0: D86CD180 1C000004
	ds_read_b32 v29, v4 offset:53696                           // 000000003BF8: D86CD1C0 1D000004
	s_waitcnt lgkmcnt(0)                                       // 000000003C00: BF8CC07F
	v_max3_f32 v30, v26, v27, v30                              // 000000003C04: D1D3001E 047A371A
	v_max3_f32 v30, v28, v29, v30                              // 000000003C0C: D1D3001E 047A3B1C
	ds_read_b128 a[144:147], v9 offset:37120                   // 000000003C14: DBFE9100 90000009
	ds_read_b128 a[148:151], v9 offset:38144                   // 000000003C1C: DBFE9500 94000009
	ds_write_b64 v182, v[202:203] offset:18560                 // 000000003C24: D89A4880 0000CAB6
	ds_read_b128 a[152:155], v9 offset:39168                   // 000000003C2C: DBFE9900 98000009
	ds_read_b128 a[156:159], v9 offset:40192                   // 000000003C34: DBFE9D00 9C000009
	ds_write_b64 v182, v[204:205] offset:18816                 // 000000003C3C: D89A4980 0000CCB6
	ds_read_b128 a[160:163], v9 offset:41216                   // 000000003C44: DBFEA100 A0000009
	ds_read_b128 a[164:167], v9 offset:42240                   // 000000003C4C: DBFEA500 A4000009
	ds_write_b64 v182, v[206:207] offset:19072                 // 000000003C54: D89A4A80 0000CEB6
	ds_read_b128 a[168:171], v9 offset:43264                   // 000000003C5C: DBFEA900 A8000009
	ds_read_b128 a[172:175], v9 offset:44288                   // 000000003C64: DBFEAD00 AC000009
	ds_write_b64 v182, v[208:209] offset:19328                 // 000000003C6C: D89A4B80 0000D0B6
	v_mov_b32_e32 v31, 0xff7fffff                              // 000000003C74: 7E3E02FF FF7FFFFF
	v_cmp_eq_u32_e64 s[38:39], v31, v16                        // 000000003C7C: D0CA0026 0002211F
	v_max_f32_e32 v26, v30, v16                                // 000000003C84: 1634211E
	v_sub_f32_e32 v20, v16, v26                                // 000000003C88: 04283510
	v_cndmask_b32_e64 v20, v20, 0, s[38:39]                    // 000000003C8C: D1000014 00990114
	v_mov_b32_e32 v16, v26                                     // 000000003C94: 7E20031A
	v_mul_f32_e32 v27, s5, v26                                 // 000000003C98: 0A363405
	v_mul_f32_e32 v20, s5, v20                                 // 000000003C9C: 0A282805
	v_exp_f32_e32 v20, v20                                     // 000000003CA0: 7E284114
	v_fma_f32 v38, v38, s5, -v27                               // 000000003CA4: D1CB0026 846C0B26
	v_fma_f32 v39, v39, s5, -v27                               // 000000003CAC: D1CB0027 846C0B27
	v_fma_f32 v40, v40, s5, -v27                               // 000000003CB4: D1CB0028 846C0B28
	v_fma_f32 v41, v41, s5, -v27                               // 000000003CBC: D1CB0029 846C0B29
	v_exp_f32_e32 v38, v38                                     // 000000003CC4: 7E4C4126
	v_exp_f32_e32 v39, v39                                     // 000000003CC8: 7E4E4127
	v_exp_f32_e32 v40, v40                                     // 000000003CCC: 7E504128
	v_exp_f32_e32 v41, v41                                     // 000000003CD0: 7E524129
	v_mul_f32_e32 v18, v20, v18                                // 000000003CD4: 0A242514
	v_mov_b32_e32 v28, v38                                     // 000000003CD8: 7E380326
	v_add_f32_e32 v28, v39, v28                                // 000000003CDC: 02383927
	v_add_f32_e32 v28, v40, v28                                // 000000003CE0: 02383928
	v_add_f32_e32 v28, v41, v28                                // 000000003CE4: 02383929
	v_add_f32_e32 v18, v28, v18                                // 000000003CE8: 0224251C
	v_mov_b32_e32 v35, 0xffff0000                              // 000000003CEC: 7E4602FF FFFF0000
	v_mov_b32_e32 v36, 0x7fff0000                              // 000000003CF4: 7E4802FF 7FFF0000
	v_mov_b32_e32 v37, 0x7fff                                  // 000000003CFC: 7E4A02FF 00007FFF
	v_cmp_u_f32_e64 s[38:39], v38, v38                         // 000000003D04: D0480026 00024D26
	v_add3_u32 v34, v38, v37, 1                                // 000000003D0C: D1FF0022 02064B26
	v_cndmask_b32_e64 v26, v34, v36, s[38:39]                  // 000000003D14: D100001A 009A4922
	v_cmp_u_f32_e64 s[38:39], v39, v39                         // 000000003D1C: D0480026 00024F27
	v_add3_u32 v34, v39, v37, 1                                // 000000003D24: D1FF0022 02064B27
	v_cndmask_b32_e64 v27, v34, v36, s[38:39]                  // 000000003D2C: D100001B 009A4922
	v_perm_b32 v38, v27, v26, s52                              // 000000003D34: D1ED0026 00D2351B
	v_cmp_u_f32_e64 s[38:39], v40, v40                         // 000000003D3C: D0480026 00025128
	v_add3_u32 v34, v40, v37, 1                                // 000000003D44: D1FF0022 02064B28
	v_cndmask_b32_e64 v26, v34, v36, s[38:39]                  // 000000003D4C: D100001A 009A4922
	v_cmp_u_f32_e64 s[38:39], v41, v41                         // 000000003D54: D0480026 00025329
	v_add3_u32 v34, v41, v37, 1                                // 000000003D5C: D1FF0022 02064B29
	v_cndmask_b32_e64 v27, v34, v36, s[38:39]                  // 000000003D64: D100001B 009A4922
	v_perm_b32 v39, v27, v26, s52                              // 000000003D6C: D1ED0027 00D2351B
	s_nop 2                                                    // 000000003D74: BF800002
	s_add_u32 s83, s84, s83                                    // 000000003D78: 80535354
	s_nop 0                                                    // 000000003D7C: BF800000
	v_mul_u32_u24_e32 v26, v13, v14                            // 000000003D80: 10341D0D
	v_add_u32_e32 v22, v26, v1                                 // 000000003D84: 682C031A
	v_add_u32_e32 v23, v26, v2                                 // 000000003D88: 682E051A
	v_add_u32_e32 v24, v26, v3                                 // 000000003D8C: 6830071A
	v_lshlrev_b32_e64 v26, 13, s97                             // 000000003D90: D112001A 0000C28D
	v_add_u32_e32 v22, v26, v22                                // 000000003D98: 682C2D1A
	v_lshlrev_b32_e64 v26, 11, s97                             // 000000003D9C: D112001A 0000C28B
	v_add_u32_e32 v23, v26, v23                                // 000000003DA4: 682E2F1A
	v_lshlrev_b32_e64 v26, 8, s97                              // 000000003DA8: D112001A 0000C288
	v_add_u32_e32 v24, v26, v24                                // 000000003DB0: 6830311A
	s_add_u32 s97, 1, s97                                      // 000000003DB4: 80616181
	s_and_b32 s97, 3, s97                                      // 000000003DB8: 86616183
	s_mov_b32 m0, s37                                          // 000000003DBC: BEFC0025
	v_mov_b32_e32 v28, v20                                     // 000000003DC0: 7E380314
	v_mov_b32_e32 v29, v20                                     // 000000003DC4: 7E3A0314
	v_pk_mul_f32 v[46:47], v[28:29], v[46:47]                  // 000000003DC8: D3B1402E 18025D1C
	v_pk_mul_f32 v[48:49], v[28:29], v[48:49]                  // 000000003DD0: D3B14030 1802611C
	v_pk_mul_f32 v[50:51], v[28:29], v[50:51]                  // 000000003DD8: D3B14032 1802651C
	v_pk_mul_f32 v[52:53], v[28:29], v[52:53]                  // 000000003DE0: D3B14034 1802691C
	v_pk_mul_f32 v[54:55], v[28:29], v[54:55]                  // 000000003DE8: D3B14036 18026D1C
	v_pk_mul_f32 v[56:57], v[28:29], v[56:57]                  // 000000003DF0: D3B14038 1802711C
	v_pk_mul_f32 v[58:59], v[28:29], v[58:59]                  // 000000003DF8: D3B1403A 1802751C
	v_pk_mul_f32 v[60:61], v[28:29], v[60:61]                  // 000000003E00: D3B1403C 1802791C
	v_pk_mul_f32 v[62:63], v[28:29], v[62:63]                  // 000000003E08: D3B1403E 18027D1C
	v_pk_mul_f32 v[64:65], v[28:29], v[64:65]                  // 000000003E10: D3B14040 1802811C
	v_pk_mul_f32 v[66:67], v[28:29], v[66:67]                  // 000000003E18: D3B14042 1802851C
	v_pk_mul_f32 v[68:69], v[28:29], v[68:69]                  // 000000003E20: D3B14044 1802891C
	v_pk_mul_f32 v[70:71], v[28:29], v[70:71]                  // 000000003E28: D3B14046 18028D1C
	v_pk_mul_f32 v[72:73], v[28:29], v[72:73]                  // 000000003E30: D3B14048 1802911C
	v_pk_mul_f32 v[74:75], v[28:29], v[74:75]                  // 000000003E38: D3B1404A 1802951C
	v_pk_mul_f32 v[76:77], v[28:29], v[76:77]                  // 000000003E40: D3B1404C 1802991C
	v_pk_mul_f32 v[78:79], v[28:29], v[78:79]                  // 000000003E48: D3B1404E 18029D1C
	v_pk_mul_f32 v[80:81], v[28:29], v[80:81]                  // 000000003E50: D3B14050 1802A11C
	v_pk_mul_f32 v[82:83], v[28:29], v[82:83]                  // 000000003E58: D3B14052 1802A51C
	v_pk_mul_f32 v[84:85], v[28:29], v[84:85]                  // 000000003E60: D3B14054 1802A91C
	v_pk_mul_f32 v[86:87], v[28:29], v[86:87]                  // 000000003E68: D3B14056 1802AD1C
	v_pk_mul_f32 v[88:89], v[28:29], v[88:89]                  // 000000003E70: D3B14058 1802B11C
	v_pk_mul_f32 v[90:91], v[28:29], v[90:91]                  // 000000003E78: D3B1405A 1802B51C
	v_pk_mul_f32 v[92:93], v[28:29], v[92:93]                  // 000000003E80: D3B1405C 1802B91C
	v_pk_mul_f32 v[94:95], v[28:29], v[94:95]                  // 000000003E88: D3B1405E 1802BD1C
	v_pk_mul_f32 v[96:97], v[28:29], v[96:97]                  // 000000003E90: D3B14060 1802C11C
	v_pk_mul_f32 v[98:99], v[28:29], v[98:99]                  // 000000003E98: D3B14062 1802C51C
	v_pk_mul_f32 v[100:101], v[28:29], v[100:101]              // 000000003EA0: D3B14064 1802C91C
	v_pk_mul_f32 v[102:103], v[28:29], v[102:103]              // 000000003EA8: D3B14066 1802CD1C
	v_pk_mul_f32 v[104:105], v[28:29], v[104:105]              // 000000003EB0: D3B14068 1802D11C
	v_pk_mul_f32 v[106:107], v[28:29], v[106:107]              // 000000003EB8: D3B1406A 1802D51C
	v_pk_mul_f32 v[108:109], v[28:29], v[108:109]              // 000000003EC0: D3B1406C 1802D91C
	v_pk_mul_f32 v[110:111], v[28:29], v[110:111]              // 000000003EC8: D3B1406E 1802DD1C
	v_pk_mul_f32 v[112:113], v[28:29], v[112:113]              // 000000003ED0: D3B14070 1802E11C
	v_pk_mul_f32 v[114:115], v[28:29], v[114:115]              // 000000003ED8: D3B14072 1802E51C
	v_pk_mul_f32 v[116:117], v[28:29], v[116:117]              // 000000003EE0: D3B14074 1802E91C
	v_pk_mul_f32 v[118:119], v[28:29], v[118:119]              // 000000003EE8: D3B14076 1802ED1C
	v_pk_mul_f32 v[120:121], v[28:29], v[120:121]              // 000000003EF0: D3B14078 1802F11C
	v_pk_mul_f32 v[122:123], v[28:29], v[122:123]              // 000000003EF8: D3B1407A 1802F51C
	v_pk_mul_f32 v[124:125], v[28:29], v[124:125]              // 000000003F00: D3B1407C 1802F91C
	v_pk_mul_f32 v[126:127], v[28:29], v[126:127]              // 000000003F08: D3B1407E 1802FD1C
	v_pk_mul_f32 v[128:129], v[28:29], v[128:129]              // 000000003F10: D3B14080 1803011C
	v_pk_mul_f32 v[130:131], v[28:29], v[130:131]              // 000000003F18: D3B14082 1803051C
	v_pk_mul_f32 v[132:133], v[28:29], v[132:133]              // 000000003F20: D3B14084 1803091C
	v_pk_mul_f32 v[134:135], v[28:29], v[134:135]              // 000000003F28: D3B14086 18030D1C
	v_pk_mul_f32 v[136:137], v[28:29], v[136:137]              // 000000003F30: D3B14088 1803111C
	v_pk_mul_f32 v[138:139], v[28:29], v[138:139]              // 000000003F38: D3B1408A 1803151C
	v_pk_mul_f32 v[140:141], v[28:29], v[140:141]              // 000000003F40: D3B1408C 1803191C
	v_pk_mul_f32 v[142:143], v[28:29], v[142:143]              // 000000003F48: D3B1408E 18031D1C
	v_pk_mul_f32 v[144:145], v[28:29], v[144:145]              // 000000003F50: D3B14090 1803211C
	v_pk_mul_f32 v[146:147], v[28:29], v[146:147]              // 000000003F58: D3B14092 1803251C
	v_pk_mul_f32 v[148:149], v[28:29], v[148:149]              // 000000003F60: D3B14094 1803291C
	v_pk_mul_f32 v[150:151], v[28:29], v[150:151]              // 000000003F68: D3B14096 18032D1C
	v_pk_mul_f32 v[152:153], v[28:29], v[152:153]              // 000000003F70: D3B14098 1803311C
	v_pk_mul_f32 v[154:155], v[28:29], v[154:155]              // 000000003F78: D3B1409A 1803351C
	v_pk_mul_f32 v[156:157], v[28:29], v[156:157]              // 000000003F80: D3B1409C 1803391C
	v_pk_mul_f32 v[158:159], v[28:29], v[158:159]              // 000000003F88: D3B1409E 18033D1C
	v_pk_mul_f32 v[160:161], v[28:29], v[160:161]              // 000000003F90: D3B140A0 1803411C
	v_pk_mul_f32 v[162:163], v[28:29], v[162:163]              // 000000003F98: D3B140A2 1803451C
	v_pk_mul_f32 v[164:165], v[28:29], v[164:165]              // 000000003FA0: D3B140A4 1803491C
	v_pk_mul_f32 v[166:167], v[28:29], v[166:167]              // 000000003FA8: D3B140A6 18034D1C
	v_pk_mul_f32 v[168:169], v[28:29], v[168:169]              // 000000003FB0: D3B140A8 1803511C
	v_pk_mul_f32 v[170:171], v[28:29], v[170:171]              // 000000003FB8: D3B140AA 1803551C
	v_pk_mul_f32 v[172:173], v[28:29], v[172:173]              // 000000003FC0: D3B140AC 1803591C
	s_waitcnt lgkmcnt(0)                                       // 000000003FC8: BF8CC07F
	v_mfma_f32_16x16x16_bf16 v[46:49], a[144:145], v[38:39], v[46:49]// 000000003FCC: D3E1002E 0CBA4D90
	ds_read_b128 a[176:179], v9 offset:45312                   // 000000003FD4: DBFEB100 B0000009
	ds_read_b128 a[180:183], v9 offset:46336                   // 000000003FDC: DBFEB500 B4000009
	v_mfma_f32_16x16x16_bf16 v[50:53], a[146:147], v[38:39], v[50:53]// 000000003FE4: D3E10032 0CCA4D92
	ds_write_b64 v182, v[206:207] offset:19072                 // 000000003FEC: D89A4A80 0000CEB6
	v_mfma_f32_16x16x16_bf16 v[54:57], a[148:149], v[38:39], v[54:57]// 000000003FF4: D3E10036 0CDA4D94
	ds_write_b64 v182, v[208:209] offset:19328                 // 000000003FFC: D89A4B80 0000D0B6
	v_mfma_f32_16x16x16_bf16 v[58:61], a[150:151], v[38:39], v[58:61]// 000000004004: D3E1003A 0CEA4D96
	ds_write_b64 v182, v[210:211] offset:19584                 // 00000000400C: D89A4C80 0000D2B6
	v_mfma_f32_16x16x16_bf16 v[62:65], a[152:153], v[38:39], v[62:65]// 000000004014: D3E1003E 0CFA4D98
	ds_read_b128 a[184:187], v9 offset:47360                   // 00000000401C: DBFEB900 B8000009
	ds_read_b128 a[188:191], v9 offset:48384                   // 000000004024: DBFEBD00 BC000009
	v_mfma_f32_16x16x16_bf16 v[66:69], a[154:155], v[38:39], v[66:69]// 00000000402C: D3E10042 0D0A4D9A
	ds_write_b64 v182, v[212:213] offset:19840                 // 000000004034: D89A4D80 0000D4B6
	v_mfma_f32_16x16x16_bf16 v[70:73], a[156:157], v[38:39], v[70:73]// 00000000403C: D3E10046 0D1A4D9C
	ds_write_b64 v182, v[214:215] offset:20096                 // 000000004044: D89A4E80 0000D6B6
	v_mfma_f32_16x16x16_bf16 v[74:77], a[158:159], v[38:39], v[74:77]// 00000000404C: D3E1004A 0D2A4D9E
	ds_write_b64 v182, v[216:217] offset:20352                 // 000000004054: D89A4F80 0000D8B6
	v_mfma_f32_16x16x16_bf16 v[78:81], a[160:161], v[38:39], v[78:81]// 00000000405C: D3E1004E 0D3A4DA0
	ds_read_b128 a[192:195], v9 offset:49408                   // 000000004064: DBFEC100 C0000009
	ds_read_b128 a[196:199], v9 offset:50432                   // 00000000406C: DBFEC500 C4000009
	v_mfma_f32_16x16x16_bf16 v[82:85], a[162:163], v[38:39], v[82:85]// 000000004074: D3E10052 0D4A4DA2
	v_mfma_f32_16x16x16_bf16 v[86:89], a[164:165], v[38:39], v[86:89]// 00000000407C: D3E10056 0D5A4DA4
	ds_write_b64 v182, v[218:219] offset:20608                 // 000000004084: D89A5080 0000DAB6
	v_mfma_f32_16x16x16_bf16 v[90:93], a[166:167], v[38:39], v[90:93]// 00000000408C: D3E1005A 0D6A4DA6
	s_waitcnt lgkmcnt(4)                                       // 000000004094: BF8CC47F
	v_mfma_f32_16x16x16_bf16 v[94:97], a[168:169], v[38:39], v[94:97]// 000000004098: D3E1005E 0D7A4DA8
	ds_read_b128 a[200:203], v9 offset:51456                   // 0000000040A0: DBFEC900 C8000009
	ds_read_b128 a[204:207], v9 offset:52480                   // 0000000040A8: DBFECD00 CC000009
	v_mfma_f32_16x16x16_bf16 v[98:101], a[170:171], v[38:39], v[98:101]// 0000000040B0: D3E10062 0D8A4DAA
	v_mfma_f32_16x16x16_bf16 v[102:105], a[172:173], v[38:39], v[102:105]// 0000000040B8: D3E10066 0D9A4DAC
	v_mfma_f32_16x16x16_bf16 v[106:109], a[174:175], v[38:39], v[106:109]// 0000000040C0: D3E1006A 0DAA4DAE
	v_mfma_f32_16x16x16_bf16 v[110:113], a[176:177], v[38:39], v[110:113]// 0000000040C8: D3E1006E 0DBA4DB0
	v_mfma_f32_16x16x16_bf16 v[114:117], a[178:179], v[38:39], v[114:117]// 0000000040D0: D3E10072 0DCA4DB2
	v_mfma_f32_16x16x16_bf16 v[118:121], a[180:181], v[38:39], v[118:121]// 0000000040D8: D3E10076 0DDA4DB4
	s_waitcnt vmcnt(10) lgkmcnt(9)                             // 0000000040E0: BF8C097A
	s_barrier                                                  // 0000000040E4: BF8A0000
	v_mfma_f32_16x16x16_bf16 v[122:125], a[182:183], v[38:39], v[122:125]// 0000000040E8: D3E1007A 0DEA4DB6
	v_mfma_f32_16x16x16_bf16 v[126:129], a[184:185], v[38:39], v[126:129]// 0000000040F0: D3E1007E 0DFA4DB8
	ds_read_b64 v[26:27], v7 offset:18560                      // 0000000040F8: D8EC4880 1A000007
	ds_read_b64 v[28:29], v7 offset:23200                      // 000000004100: D8EC5AA0 1C000007
	v_mfma_f32_16x16x16_bf16 v[130:133], a[186:187], v[38:39], v[130:133]// 000000004108: D3E10082 0E0A4DBA
	ds_read_b64 v[30:31], v7 offset:27840                      // 000000004110: D8EC6CC0 1E000007
	ds_read_b64 v[32:33], v7 offset:32480                      // 000000004118: D8EC7EE0 20000007
	v_mfma_f32_16x16x16_bf16 v[134:137], a[188:189], v[38:39], v[134:137]// 000000004120: D3E10086 0E1A4DBC
	ds_read_b128 a[144:147], v6 offset:18560                   // 000000004128: DBFE4880 90000006
	v_mfma_f32_16x16x16_bf16 v[138:141], a[190:191], v[38:39], v[138:141]// 000000004130: D3E1008A 0E2A4DBE
	ds_read_b128 a[148:151], v6 offset:18624                   // 000000004138: DBFE48C0 94000006
	v_mfma_f32_16x16x16_bf16 v[142:145], a[192:193], v[38:39], v[142:145]// 000000004140: D3E1008E 0E3A4DC0
	ds_read_b128 a[152:155], v6 offset:18816                   // 000000004148: DBFE4980 98000006
	v_mfma_f32_16x16x16_bf16 v[146:149], a[194:195], v[38:39], v[146:149]// 000000004150: D3E10092 0E4A4DC2
	ds_read_b128 a[156:159], v6 offset:18880                   // 000000004158: DBFE49C0 9C000006
	v_mfma_f32_16x16x16_bf16 v[150:153], a[196:197], v[38:39], v[150:153]// 000000004160: D3E10096 0E5A4DC4
	ds_read_b128 a[160:163], v6 offset:19072                   // 000000004168: DBFE4A80 A0000006
	v_mfma_f32_16x16x16_bf16 v[154:157], a[198:199], v[38:39], v[154:157]// 000000004170: D3E1009A 0E6A4DC6
	ds_read_b128 a[164:167], v6 offset:19136                   // 000000004178: DBFE4AC0 A4000006
	v_mfma_f32_16x16x16_bf16 v[158:161], a[200:201], v[38:39], v[158:161]// 000000004180: D3E1009E 0E7A4DC8
	ds_read_b128 a[168:171], v6 offset:19328                   // 000000004188: DBFE4B80 A8000006
	v_mfma_f32_16x16x16_bf16 v[162:165], a[202:203], v[38:39], v[162:165]// 000000004190: D3E100A2 0E8A4DCA
	ds_read_b128 a[172:175], v6 offset:19392                   // 000000004198: DBFE4BC0 AC000006
	v_mfma_f32_16x16x16_bf16 v[166:169], a[204:205], v[38:39], v[166:169]// 0000000041A0: D3E100A6 0E9A4DCC
	s_waitcnt lgkmcnt(8)                                       // 0000000041A8: BF8CC87F
	v_perm_b32 v174, v28, v26, s53                             // 0000000041AC: D1ED00AE 00D6351C
	v_perm_b32 v176, v28, v26, s52                             // 0000000041B4: D1ED00B0 00D2351C
	v_perm_b32 v175, v32, v30, s53                             // 0000000041BC: D1ED00AF 00D63D20
	v_perm_b32 v177, v32, v30, s52                             // 0000000041C4: D1ED00B1 00D23D20
	v_mfma_f32_16x16x16_bf16 v[170:173], a[206:207], v[38:39], v[170:173]// 0000000041CC: D3E100AA 0EAA4DCE
	ds_write_b128 v8, v[174:177] offset:37120                  // 0000000041D4: D9BE9100 0000AE08
	v_perm_b32 v174, v29, v27, s53                             // 0000000041DC: D1ED00AE 00D6371D
	v_perm_b32 v176, v29, v27, s52                             // 0000000041E4: D1ED00B0 00D2371D
	v_perm_b32 v175, v33, v31, s53                             // 0000000041EC: D1ED00AF 00D63F21
	v_perm_b32 v177, v33, v31, s52                             // 0000000041F4: D1ED00B1 00D23F21
	ds_write_b128 v8, v[174:177] offset:38144                  // 0000000041FC: D9BE9500 0000AE08
	ds_read_b64 v[26:27], v7 offset:19584                      // 000000004204: D8EC4C80 1A000007
	ds_read_b64 v[28:29], v7 offset:24224                      // 00000000420C: D8EC5EA0 1C000007
	ds_read_b64 v[30:31], v7 offset:28864                      // 000000004214: D8EC70C0 1E000007
	ds_read_b64 v[32:33], v7 offset:33504                      // 00000000421C: D8EC82E0 20000007
	s_nop 0                                                    // 000000004224: BF800000
	s_addk_i32 s70, 0x1                                        // 000000004228: B7460001
	s_cmp_lt_i32 s70, s71                                      // 00000000422C: BF044746
	s_cbranch_scc0 label_0AB5                                  // 000000004230: BF8402E8
	s_waitcnt lgkmcnt(4)                                       // 000000004234: BF8CC47F
	s_waitcnt vmcnt(0)                                         // 000000004238: BF8C0F70
	v_mfma_f32_16x16x16_bf16 v[38:41], a[144:145], a[0:1], 0   // 00000000423C: D3E10026 1A020190
	s_barrier                                                  // 000000004244: BF8A0000
	ds_read_b128 a[176:179], v6 offset:19584                   // 000000004248: DBFE4C80 B0000006
	ds_read_b128 a[180:183], v6 offset:19648                   // 000000004250: DBFE4CC0 B4000006
	v_mfma_f32_16x16x16_bf16 v[38:41], a[146:147], a[2:3], v[38:41]// 000000004258: D3E10026 1C9A0592
	buffer_load_dword v13, v10, s[24:27], 0 offen              // 000000004260: E0501000 80060D0A
	v_mfma_f32_16x16x16_bf16 v[38:41], a[148:149], a[4:5], v[38:41]// 000000004268: D3E10026 1C9A0994
	v_mov_b32_e32 v228, v192                                   // 000000004270: 7FC803C0
	v_cvt_pk_f32_fp8_sdwa v[228:229], v192 src0_sel:WORD_0     // 000000004274: 7FC8ACF9 000406C0
	v_cvt_pk_f32_fp8_sdwa v[230:231], v192 src0_sel:WORD_1     // 00000000427C: 7FCCACF9 000506C0
	v_mul_f32_dpp v228, v232, v228 row_newbcast:0 row_mask:0xf bank_mask:0xf// 000000004284: 0BC9C8FA FF0150E8
	v_mul_f32_dpp v229, v232, v229 row_newbcast:0 row_mask:0xf bank_mask:0xf// 00000000428C: 0BCBCAFA FF0150E8
	v_mul_f32_dpp v230, v232, v230 row_newbcast:0 row_mask:0xf bank_mask:0xf// 000000004294: 0BCDCCFA FF0150E8
	v_mul_f32_dpp v231, v232, v231 row_newbcast:0 row_mask:0xf bank_mask:0xf// 00000000429C: 0BCFCEFA FF0150E8
	v_perm_b32 v184, v229, v228, s52                           // 0000000042A4: D1ED00B8 00D3C9E5
	v_perm_b32 v185, v231, v230, s52                           // 0000000042AC: D1ED00B9 00D3CDE7
	v_mfma_f32_16x16x16_bf16 v[38:41], a[150:151], a[6:7], v[38:41]// 0000000042B4: D3E10026 1C9A0D96
	v_mov_b32_e32 v228, v193                                   // 0000000042BC: 7FC803C1
	v_cvt_pk_f32_fp8_sdwa v[228:229], v193 src0_sel:WORD_0     // 0000000042C0: 7FC8ACF9 000406C1
	v_cvt_pk_f32_fp8_sdwa v[230:231], v193 src0_sel:WORD_1     // 0000000042C8: 7FCCACF9 000506C1
	v_mul_f32_dpp v228, v232, v228 row_newbcast:0 row_mask:0xf bank_mask:0xf// 0000000042D0: 0BC9C8FA FF0150E8
	v_mul_f32_dpp v229, v232, v229 row_newbcast:0 row_mask:0xf bank_mask:0xf// 0000000042D8: 0BCBCAFA FF0150E8
	v_mul_f32_dpp v230, v232, v230 row_newbcast:0 row_mask:0xf bank_mask:0xf// 0000000042E0: 0BCDCCFA FF0150E8
	v_mul_f32_dpp v231, v232, v231 row_newbcast:0 row_mask:0xf bank_mask:0xf// 0000000042E8: 0BCFCEFA FF0150E8
	v_perm_b32 v186, v229, v228, s52                           // 0000000042F0: D1ED00BA 00D3C9E5
	v_perm_b32 v187, v231, v230, s52                           // 0000000042F8: D1ED00BB 00D3CDE7
	v_mfma_f32_16x16x16_bf16 v[38:41], a[152:153], a[8:9], v[38:41]// 000000004300: D3E10026 1C9A1198
	s_barrier                                                  // 000000004308: BF8A0000
	ds_read_b128 a[184:187], v6 offset:19840                   // 00000000430C: DBFE4D80 B8000006
	ds_read_b128 a[188:191], v6 offset:19904                   // 000000004314: DBFE4DC0 BC000006
	v_mfma_f32_16x16x16_bf16 v[38:41], a[154:155], a[10:11], v[38:41]// 00000000431C: D3E10026 1C9A159A
	v_mfma_f32_16x16x16_bf16 v[38:41], a[156:157], a[12:13], v[38:41]// 000000004324: D3E10026 1C9A199C
	v_mov_b32_e32 v228, v194                                   // 00000000432C: 7FC803C2
	v_cvt_pk_f32_fp8_sdwa v[228:229], v194 src0_sel:WORD_0     // 000000004330: 7FC8ACF9 000406C2
	v_cvt_pk_f32_fp8_sdwa v[230:231], v194 src0_sel:WORD_1     // 000000004338: 7FCCACF9 000506C2
	v_mul_f32_dpp v228, v232, v228 row_newbcast:1 row_mask:0xf bank_mask:0xf// 000000004340: 0BC9C8FA FF0151E8
	v_mul_f32_dpp v229, v232, v229 row_newbcast:1 row_mask:0xf bank_mask:0xf// 000000004348: 0BCBCAFA FF0151E8
	v_mul_f32_dpp v230, v232, v230 row_newbcast:1 row_mask:0xf bank_mask:0xf// 000000004350: 0BCDCCFA FF0151E8
	v_mul_f32_dpp v231, v232, v231 row_newbcast:1 row_mask:0xf bank_mask:0xf// 000000004358: 0BCFCEFA FF0151E8
	v_perm_b32 v188, v229, v228, s52                           // 000000004360: D1ED00BC 00D3C9E5
	v_perm_b32 v189, v231, v230, s52                           // 000000004368: D1ED00BD 00D3CDE7
	v_mfma_f32_16x16x16_bf16 v[38:41], a[158:159], a[14:15], v[38:41]// 000000004370: D3E10026 1C9A1D9E
	s_waitcnt lgkmcnt(4)                                       // 000000004378: BF8CC47F
	v_mfma_f32_16x16x16_bf16 v[38:41], a[160:161], a[16:17], v[38:41]// 00000000437C: D3E10026 1C9A21A0
	s_barrier                                                  // 000000004384: BF8A0000
	ds_read_b128 a[192:195], v6 offset:20096                   // 000000004388: DBFE4E80 C0000006
	ds_read_b128 a[196:199], v6 offset:20160                   // 000000004390: DBFE4EC0 C4000006
	v_mfma_f32_16x16x16_bf16 v[38:41], a[162:163], a[18:19], v[38:41]// 000000004398: D3E10026 1C9A25A2
	v_mfma_f32_16x16x16_bf16 v[38:41], a[164:165], a[20:21], v[38:41]// 0000000043A0: D3E10026 1C9A29A4
	v_mov_b32_e32 v228, v195                                   // 0000000043A8: 7FC803C3
	v_cvt_pk_f32_fp8_sdwa v[228:229], v195 src0_sel:WORD_0     // 0000000043AC: 7FC8ACF9 000406C3
	v_cvt_pk_f32_fp8_sdwa v[230:231], v195 src0_sel:WORD_1     // 0000000043B4: 7FCCACF9 000506C3
	v_mul_f32_dpp v228, v232, v228 row_newbcast:1 row_mask:0xf bank_mask:0xf// 0000000043BC: 0BC9C8FA FF0151E8
	v_mul_f32_dpp v229, v232, v229 row_newbcast:1 row_mask:0xf bank_mask:0xf// 0000000043C4: 0BCBCAFA FF0151E8
	v_mul_f32_dpp v230, v232, v230 row_newbcast:1 row_mask:0xf bank_mask:0xf// 0000000043CC: 0BCDCCFA FF0151E8
	v_mul_f32_dpp v231, v232, v231 row_newbcast:1 row_mask:0xf bank_mask:0xf// 0000000043D4: 0BCFCEFA FF0151E8
	v_perm_b32 v190, v229, v228, s52                           // 0000000043DC: D1ED00BE 00D3C9E5
	v_perm_b32 v191, v231, v230, s52                           // 0000000043E4: D1ED00BF 00D3CDE7
	v_mfma_f32_16x16x16_bf16 v[38:41], a[166:167], a[22:23], v[38:41]// 0000000043EC: D3E10026 1C9A2DA6
	v_mov_b32_e32 v228, v196                                   // 0000000043F4: 7FC803C4
	v_cvt_pk_f32_fp8_sdwa v[228:229], v196 src0_sel:WORD_0     // 0000000043F8: 7FC8ACF9 000406C4
	v_cvt_pk_f32_fp8_sdwa v[230:231], v196 src0_sel:WORD_1     // 000000004400: 7FCCACF9 000506C4
	v_mul_f32_dpp v228, v232, v228 row_newbcast:2 row_mask:0xf bank_mask:0xf// 000000004408: 0BC9C8FA FF0152E8
	v_mul_f32_dpp v229, v232, v229 row_newbcast:2 row_mask:0xf bank_mask:0xf// 000000004410: 0BCBCAFA FF0152E8
	v_mul_f32_dpp v230, v232, v230 row_newbcast:2 row_mask:0xf bank_mask:0xf// 000000004418: 0BCDCCFA FF0152E8
	v_mul_f32_dpp v231, v232, v231 row_newbcast:2 row_mask:0xf bank_mask:0xf// 000000004420: 0BCFCEFA FF0152E8
	v_perm_b32 v192, v229, v228, s52                           // 000000004428: D1ED00C0 00D3C9E5
	v_perm_b32 v193, v231, v230, s52                           // 000000004430: D1ED00C1 00D3CDE7
	v_mfma_f32_16x16x16_bf16 v[38:41], a[168:169], a[24:25], v[38:41]// 000000004438: D3E10026 1C9A31A8
	s_barrier                                                  // 000000004440: BF8A0000
	ds_read_b128 a[200:203], v6 offset:20352                   // 000000004444: DBFE4F80 C8000006
	ds_read_b128 a[204:207], v6 offset:20416                   // 00000000444C: DBFE4FC0 CC000006
	v_mfma_f32_16x16x16_bf16 v[38:41], a[170:171], a[26:27], v[38:41]// 000000004454: D3E10026 1C9A35AA
	v_mfma_f32_16x16x16_bf16 v[38:41], a[172:173], a[28:29], v[38:41]// 00000000445C: D3E10026 1C9A39AC
	v_mov_b32_e32 v228, v197                                   // 000000004464: 7FC803C5
	v_cvt_pk_f32_fp8_sdwa v[228:229], v197 src0_sel:WORD_0     // 000000004468: 7FC8ACF9 000406C5
	v_cvt_pk_f32_fp8_sdwa v[230:231], v197 src0_sel:WORD_1     // 000000004470: 7FCCACF9 000506C5
	v_mul_f32_dpp v228, v232, v228 row_newbcast:2 row_mask:0xf bank_mask:0xf// 000000004478: 0BC9C8FA FF0152E8
	v_mul_f32_dpp v229, v232, v229 row_newbcast:2 row_mask:0xf bank_mask:0xf// 000000004480: 0BCBCAFA FF0152E8
	v_mul_f32_dpp v230, v232, v230 row_newbcast:2 row_mask:0xf bank_mask:0xf// 000000004488: 0BCDCCFA FF0152E8
	v_mul_f32_dpp v231, v232, v231 row_newbcast:2 row_mask:0xf bank_mask:0xf// 000000004490: 0BCFCEFA FF0152E8
	v_perm_b32 v194, v229, v228, s52                           // 000000004498: D1ED00C2 00D3C9E5
	v_perm_b32 v195, v231, v230, s52                           // 0000000044A0: D1ED00C3 00D3CDE7
	v_mfma_f32_16x16x16_bf16 v[38:41], a[174:175], a[30:31], v[38:41]// 0000000044A8: D3E10026 1C9A3DAE
	s_waitcnt lgkmcnt(4)                                       // 0000000044B0: BF8CC47F
	s_barrier                                                  // 0000000044B4: BF8A0000
	v_mfma_f32_16x16x16_bf16 v[38:41], a[176:177], a[32:33], v[38:41]// 0000000044B8: D3E10026 1C9A41B0
	s_barrier                                                  // 0000000044C0: BF8A0000
	ds_read_b128 a[208:211], v6 offset:20608                   // 0000000044C4: DBFE5080 D0000006
	ds_read_b128 a[212:215], v6 offset:20672                   // 0000000044CC: DBFE50C0 D4000006
	v_mfma_f32_16x16x16_bf16 v[38:41], a[178:179], a[34:35], v[38:41]// 0000000044D4: D3E10026 1C9A45B2
	v_mov_b32_e32 v228, v198                                   // 0000000044DC: 7FC803C6
	v_cvt_pk_f32_fp8_sdwa v[228:229], v198 src0_sel:WORD_0     // 0000000044E0: 7FC8ACF9 000406C6
	v_cvt_pk_f32_fp8_sdwa v[230:231], v198 src0_sel:WORD_1     // 0000000044E8: 7FCCACF9 000506C6
	v_mul_f32_dpp v228, v232, v228 row_newbcast:3 row_mask:0xf bank_mask:0xf// 0000000044F0: 0BC9C8FA FF0153E8
	v_mul_f32_dpp v229, v232, v229 row_newbcast:3 row_mask:0xf bank_mask:0xf// 0000000044F8: 0BCBCAFA FF0153E8
	v_mul_f32_dpp v230, v232, v230 row_newbcast:3 row_mask:0xf bank_mask:0xf// 000000004500: 0BCDCCFA FF0153E8
	v_mul_f32_dpp v231, v232, v231 row_newbcast:3 row_mask:0xf bank_mask:0xf// 000000004508: 0BCFCEFA FF0153E8
	v_perm_b32 v196, v229, v228, s52                           // 000000004510: D1ED00C4 00D3C9E5
	v_perm_b32 v197, v231, v230, s52                           // 000000004518: D1ED00C5 00D3CDE7
	buffer_load_dword v210, v22, s[20:23], 0 offen             // 000000004520: E0501000 8005D216
	v_mfma_f32_16x16x16_bf16 v[38:41], a[180:181], a[36:37], v[38:41]// 000000004528: D3E10026 1C9A49B4
	v_perm_b32 v174, v28, v26, s53                             // 000000004530: D1ED00AE 00D6351C
	v_perm_b32 v176, v28, v26, s52                             // 000000004538: D1ED00B0 00D2351C
	v_perm_b32 v175, v32, v30, s53                             // 000000004540: D1ED00AF 00D63D20
	v_perm_b32 v177, v32, v30, s52                             // 000000004548: D1ED00B1 00D23D20
	v_mfma_f32_16x16x16_bf16 v[38:41], a[182:183], a[38:39], v[38:41]// 000000004550: D3E10026 1C9A4DB6
	buffer_load_dword v211, v22, s[20:23], 0 offen offset:64   // 000000004558: E0501040 8005D316
	v_mfma_f32_16x16x16_bf16 v[38:41], a[184:185], a[40:41], v[38:41]// 000000004560: D3E10026 1C9A51B8
	s_barrier                                                  // 000000004568: BF8A0000
	ds_write_b128 v8, v[174:177] offset:45312                  // 00000000456C: D9BEB100 0000AE08
	v_mfma_f32_16x16x16_bf16 v[38:41], a[186:187], a[42:43], v[38:41]// 000000004574: D3E10026 1C9A55BA
	buffer_load_dword v212, v22, s[20:23], 0 offen offset:128  // 00000000457C: E0501080 8005D416
	v_mfma_f32_16x16x16_bf16 v[38:41], a[188:189], a[44:45], v[38:41]// 000000004584: D3E10026 1C9A59BC
	v_perm_b32 v174, v29, v27, s53                             // 00000000458C: D1ED00AE 00D6371D
	v_perm_b32 v176, v29, v27, s52                             // 000000004594: D1ED00B0 00D2371D
	v_perm_b32 v175, v33, v31, s53                             // 00000000459C: D1ED00AF 00D63F21
	v_perm_b32 v177, v33, v31, s52                             // 0000000045A4: D1ED00B1 00D23F21
	v_mfma_f32_16x16x16_bf16 v[38:41], a[190:191], a[46:47], v[38:41]// 0000000045AC: D3E10026 1C9A5DBE
	buffer_load_dword v213, v22, s[20:23], 0 offen offset:192  // 0000000045B4: E05010C0 8005D516
	s_waitcnt lgkmcnt(1)                                       // 0000000045BC: BF8CC17F
	s_barrier                                                  // 0000000045C0: BF8A0000
	v_mfma_f32_16x16x16_bf16 v[38:41], a[192:193], a[48:49], v[38:41]// 0000000045C4: D3E10026 1C9A61C0
	s_barrier                                                  // 0000000045CC: BF8A0000
	ds_write_b128 v8, v[174:177] offset:46336                  // 0000000045D0: D9BEB500 0000AE08
	v_mfma_f32_16x16x16_bf16 v[38:41], a[194:195], a[50:51], v[38:41]// 0000000045D8: D3E10026 1C9A65C2
	buffer_load_dword v214, v22, s[20:23], 0 offen offset:256  // 0000000045E0: E0501100 8005D616
	v_mfma_f32_16x16x16_bf16 v[38:41], a[196:197], a[52:53], v[38:41]// 0000000045E8: D3E10026 1C9A69C4
	v_mov_b32_e32 v228, v199                                   // 0000000045F0: 7FC803C7
	v_cvt_pk_f32_fp8_sdwa v[228:229], v199 src0_sel:WORD_0     // 0000000045F4: 7FC8ACF9 000406C7
	v_cvt_pk_f32_fp8_sdwa v[230:231], v199 src0_sel:WORD_1     // 0000000045FC: 7FCCACF9 000506C7
	v_mul_f32_dpp v228, v232, v228 row_newbcast:3 row_mask:0xf bank_mask:0xf// 000000004604: 0BC9C8FA FF0153E8
	v_mul_f32_dpp v229, v232, v229 row_newbcast:3 row_mask:0xf bank_mask:0xf// 00000000460C: 0BCBCAFA FF0153E8
	v_mul_f32_dpp v230, v232, v230 row_newbcast:3 row_mask:0xf bank_mask:0xf// 000000004614: 0BCDCCFA FF0153E8
	v_mul_f32_dpp v231, v232, v231 row_newbcast:3 row_mask:0xf bank_mask:0xf// 00000000461C: 0BCFCEFA FF0153E8
	v_perm_b32 v198, v229, v228, s52                           // 000000004624: D1ED00C6 00D3C9E5
	v_perm_b32 v199, v231, v230, s52                           // 00000000462C: D1ED00C7 00D3CDE7
	v_mfma_f32_16x16x16_bf16 v[38:41], a[198:199], a[54:55], v[38:41]// 000000004634: D3E10026 1C9A6DC6
	buffer_load_dword v215, v22, s[20:23], 0 offen offset:320  // 00000000463C: E0501140 8005D716
	v_mfma_f32_16x16x16_bf16 v[38:41], a[200:201], a[56:57], v[38:41]// 000000004644: D3E10026 1C9A71C8
	s_barrier                                                  // 00000000464C: BF8A0000
	v_mfma_f32_16x16x16_bf16 v[38:41], a[202:203], a[58:59], v[38:41]// 000000004650: D3E10026 1C9A75CA
	buffer_load_dword v216, v22, s[20:23], 0 offen offset:384  // 000000004658: E0501180 8005D816
	v_mfma_f32_16x16x16_bf16 v[38:41], a[204:205], a[60:61], v[38:41]// 000000004660: D3E10026 1C9A79CC
	v_mfma_f32_16x16x16_bf16 v[38:41], a[206:207], a[62:63], v[38:41]// 000000004668: D3E10026 1C9A7DCE
	buffer_load_dword v217, v22, s[20:23], 0 offen offset:448  // 000000004670: E05011C0 8005D916
	v_mfma_f32_16x16x16_bf16 v[38:41], a[208:209], a[64:65], v[38:41]// 000000004678: D3E10026 1C9A81D0
	s_barrier                                                  // 000000004680: BF8A0000
	v_mfma_f32_16x16x16_bf16 v[38:41], a[210:211], a[66:67], v[38:41]// 000000004684: D3E10026 1C9A85D2
	buffer_load_dwordx2 v[218:219], v23, s[20:23], 0 offen     // 00000000468C: E0541000 8005DA17
	v_mfma_f32_16x16x16_bf16 v[38:41], a[212:213], a[68:69], v[38:41]// 000000004694: D3E10026 1C9A89D4
	v_mfma_f32_16x16x16_bf16 v[38:41], a[214:215], a[70:71], v[38:41]// 00000000469C: D3E10026 1C9A8DD6
	buffer_load_dword v233, v24, s[20:23], 0 offen             // 0000000046A4: E0501000 8005E918
	s_cmp_eq_i32 s98, 0                                        // 0000000046AC: BF008062
	s_cbranch_scc0 label_08EE                                  // 0000000046B0: BF840001
	v_add_u32_e32 v10, s73, v10                                // 0000000046B4: 68141449

00000000000046b8 <label_08EE>:
	s_add_u32 s98, 1, s98                                      // 0000000046B8: 80626281
	s_and_b32 s98, 3, s98                                      // 0000000046BC: 86626283
	s_cmp_le_i32 s83, s82                                      // 0000000046C0: BF055253
	s_cbranch_scc1 label_0916                                  // 0000000046C4: BF850024
	v_mov_b32_e32 v31, 0xff800000                              // 0000000046C8: 7E3E02FF FF800000
	s_add_u32 s57, s82, 0                                      // 0000000046D0: 80398052
	v_mov_b32_e32 v30, s57                                     // 0000000046D4: 7E3C0239
	v_add_u32_e32 v30, s7, v30                                 // 0000000046D8: 683C3C07
	s_sub_u32 s56, s83, 15                                     // 0000000046DC: 80B88F53
	v_lshrrev_b32_e32 v26, 4, v0                               // 0000000046E0: 20340084
	v_mul_i32_i24_e32 v26, 4, v26                              // 0000000046E4: 0C343484
	v_add_u32_e32 v26, s56, v26                                // 0000000046E8: 68343438
	v_add_u32_e32 v27, 1, v26                                  // 0000000046EC: 68363481
	v_add_u32_e32 v28, 2, v26                                  // 0000000046F0: 68383482
	v_add_u32_e32 v29, 3, v26                                  // 0000000046F4: 683A3483
	v_cmp_le_u32_e64 s[38:39], v26, v30                        // 0000000046F8: D0CB0026 00023D1A
	v_add_u32_e32 v26, 64, v26                                 // 000000004700: 683434C0
	s_nop 0                                                    // 000000004704: BF800000
	v_cndmask_b32_e64 v38, v31, v38, s[38:39]                  // 000000004708: D1000026 009A4D1F
	v_cmp_le_u32_e64 s[38:39], v27, v30                        // 000000004710: D0CB0026 00023D1B
	v_add_u32_e32 v27, 64, v27                                 // 000000004718: 683636C0
	s_nop 0                                                    // 00000000471C: BF800000
	v_cndmask_b32_e64 v39, v31, v39, s[38:39]                  // 000000004720: D1000027 009A4F1F
	v_cmp_le_u32_e64 s[38:39], v28, v30                        // 000000004728: D0CB0026 00023D1C
	v_add_u32_e32 v28, 64, v28                                 // 000000004730: 683838C0
	s_nop 0                                                    // 000000004734: BF800000
	v_cndmask_b32_e64 v40, v31, v40, s[38:39]                  // 000000004738: D1000028 009A511F
	v_cmp_le_u32_e64 s[38:39], v29, v30                        // 000000004740: D0CB0026 00023D1D
	v_add_u32_e32 v29, 64, v29                                 // 000000004748: 683A3AC0
	s_nop 0                                                    // 00000000474C: BF800000
	v_cndmask_b32_e64 v41, v31, v41, s[38:39]                  // 000000004750: D1000029 009A531F

0000000000004758 <label_0916>:
	s_waitcnt lgkmcnt(0)                                       // 000000004758: BF8CC07F
	s_barrier                                                  // 00000000475C: BF8A0000
	v_max3_f32 v30, v38, v39, v38                              // 000000004760: D1D3001E 049A4F26
	v_max3_f32 v30, v40, v41, v30                              // 000000004768: D1D3001E 047A5328
	ds_write_b32 v5, v30 offset:53504                          // 000000004770: D81AD100 00001E05
	s_waitcnt lgkmcnt(0)                                       // 000000004778: BF8CC07F
	ds_read_b32 v26, v4 offset:53504                           // 00000000477C: D86CD100 1A000004
	ds_read_b32 v27, v4 offset:53568                           // 000000004784: D86CD140 1B000004
	ds_read_b32 v28, v4 offset:53632                           // 00000000478C: D86CD180 1C000004
	ds_read_b32 v29, v4 offset:53696                           // 000000004794: D86CD1C0 1D000004
	s_waitcnt lgkmcnt(0)                                       // 00000000479C: BF8CC07F
	v_max3_f32 v30, v26, v27, v30                              // 0000000047A0: D1D3001E 047A371A
	v_max3_f32 v30, v28, v29, v30                              // 0000000047A8: D1D3001E 047A3B1C
	ds_read_b128 a[144:147], v9 offset:37120                   // 0000000047B0: DBFE9100 90000009
	ds_read_b128 a[148:151], v9 offset:38144                   // 0000000047B8: DBFE9500 94000009
	ds_write_b64 v182, v[184:185]                              // 0000000047C0: D89A0000 0000B8B6
	ds_read_b128 a[152:155], v9 offset:39168                   // 0000000047C8: DBFE9900 98000009
	ds_read_b128 a[156:159], v9 offset:40192                   // 0000000047D0: DBFE9D00 9C000009
	ds_write_b64 v182, v[186:187] offset:256                   // 0000000047D8: D89A0100 0000BAB6
	ds_read_b128 a[160:163], v9 offset:41216                   // 0000000047E0: DBFEA100 A0000009
	ds_read_b128 a[164:167], v9 offset:42240                   // 0000000047E8: DBFEA500 A4000009
	ds_write_b64 v182, v[188:189] offset:512                   // 0000000047F0: D89A0200 0000BCB6
	ds_read_b128 a[168:171], v9 offset:43264                   // 0000000047F8: DBFEA900 A8000009
	ds_read_b128 a[172:175], v9 offset:44288                   // 000000004800: DBFEAD00 AC000009
	ds_write_b64 v182, v[190:191] offset:768                   // 000000004808: D89A0300 0000BEB6
	v_mov_b32_e32 v31, 0xff7fffff                              // 000000004810: 7E3E02FF FF7FFFFF
	v_cmp_eq_u32_e64 s[38:39], v31, v16                        // 000000004818: D0CA0026 0002211F
	v_max_f32_e32 v26, v30, v16                                // 000000004820: 1634211E
	v_sub_f32_e32 v20, v16, v26                                // 000000004824: 04283510
	v_cndmask_b32_e64 v20, v20, 0, s[38:39]                    // 000000004828: D1000014 00990114
	v_mov_b32_e32 v16, v26                                     // 000000004830: 7E20031A
	v_mul_f32_e32 v27, s5, v26                                 // 000000004834: 0A363405
	v_mul_f32_e32 v20, s5, v20                                 // 000000004838: 0A282805
	v_exp_f32_e32 v20, v20                                     // 00000000483C: 7E284114
	v_fma_f32 v38, v38, s5, -v27                               // 000000004840: D1CB0026 846C0B26
	v_fma_f32 v39, v39, s5, -v27                               // 000000004848: D1CB0027 846C0B27
	v_fma_f32 v40, v40, s5, -v27                               // 000000004850: D1CB0028 846C0B28
	v_fma_f32 v41, v41, s5, -v27                               // 000000004858: D1CB0029 846C0B29
	v_exp_f32_e32 v38, v38                                     // 000000004860: 7E4C4126
	v_exp_f32_e32 v39, v39                                     // 000000004864: 7E4E4127
	v_exp_f32_e32 v40, v40                                     // 000000004868: 7E504128
	v_exp_f32_e32 v41, v41                                     // 00000000486C: 7E524129
	v_mul_f32_e32 v18, v20, v18                                // 000000004870: 0A242514
	v_mov_b32_e32 v28, v38                                     // 000000004874: 7E380326
	v_add_f32_e32 v28, v39, v28                                // 000000004878: 02383927
	v_add_f32_e32 v28, v40, v28                                // 00000000487C: 02383928
	v_add_f32_e32 v28, v41, v28                                // 000000004880: 02383929
	v_add_f32_e32 v18, v28, v18                                // 000000004884: 0224251C
	v_mov_b32_e32 v35, 0xffff0000                              // 000000004888: 7E4602FF FFFF0000
	v_mov_b32_e32 v36, 0x7fff0000                              // 000000004890: 7E4802FF 7FFF0000
	v_mov_b32_e32 v37, 0x7fff                                  // 000000004898: 7E4A02FF 00007FFF
	v_cmp_u_f32_e64 s[38:39], v38, v38                         // 0000000048A0: D0480026 00024D26
	v_add3_u32 v34, v38, v37, 1                                // 0000000048A8: D1FF0022 02064B26
	v_cndmask_b32_e64 v26, v34, v36, s[38:39]                  // 0000000048B0: D100001A 009A4922
	v_cmp_u_f32_e64 s[38:39], v39, v39                         // 0000000048B8: D0480026 00024F27
	v_add3_u32 v34, v39, v37, 1                                // 0000000048C0: D1FF0022 02064B27
	v_cndmask_b32_e64 v27, v34, v36, s[38:39]                  // 0000000048C8: D100001B 009A4922
	v_perm_b32 v38, v27, v26, s52                              // 0000000048D0: D1ED0026 00D2351B
	v_cmp_u_f32_e64 s[38:39], v40, v40                         // 0000000048D8: D0480026 00025128
	v_add3_u32 v34, v40, v37, 1                                // 0000000048E0: D1FF0022 02064B28
	v_cndmask_b32_e64 v26, v34, v36, s[38:39]                  // 0000000048E8: D100001A 009A4922
	v_cmp_u_f32_e64 s[38:39], v41, v41                         // 0000000048F0: D0480026 00025329
	v_add3_u32 v34, v41, v37, 1                                // 0000000048F8: D1FF0022 02064B29
	v_cndmask_b32_e64 v27, v34, v36, s[38:39]                  // 000000004900: D100001B 009A4922
	v_perm_b32 v39, v27, v26, s52                              // 000000004908: D1ED0027 00D2351B
	s_nop 2                                                    // 000000004910: BF800002
	s_add_u32 s83, s84, s83                                    // 000000004914: 80535354
	s_nop 0                                                    // 000000004918: BF800000
	v_mul_u32_u24_e32 v26, v12, v14                            // 00000000491C: 10341D0C
	v_add_u32_e32 v22, v26, v1                                 // 000000004920: 682C031A
	v_add_u32_e32 v23, v26, v2                                 // 000000004924: 682E051A
	v_add_u32_e32 v24, v26, v3                                 // 000000004928: 6830071A
	v_lshlrev_b32_e64 v26, 13, s97                             // 00000000492C: D112001A 0000C28D
	v_add_u32_e32 v22, v26, v22                                // 000000004934: 682C2D1A
	v_lshlrev_b32_e64 v26, 11, s97                             // 000000004938: D112001A 0000C28B
	v_add_u32_e32 v23, v26, v23                                // 000000004940: 682E2F1A
	v_lshlrev_b32_e64 v26, 8, s97                              // 000000004944: D112001A 0000C288
	v_add_u32_e32 v24, v26, v24                                // 00000000494C: 6830311A
	s_add_u32 s97, 1, s97                                      // 000000004950: 80616181
	s_and_b32 s97, 3, s97                                      // 000000004954: 86616183
	s_mov_b32 m0, s35                                          // 000000004958: BEFC0023
	v_mov_b32_e32 v28, v20                                     // 00000000495C: 7E380314
	v_mov_b32_e32 v29, v20                                     // 000000004960: 7E3A0314
	v_pk_mul_f32 v[46:47], v[28:29], v[46:47]                  // 000000004964: D3B1402E 18025D1C
	v_pk_mul_f32 v[48:49], v[28:29], v[48:49]                  // 00000000496C: D3B14030 1802611C
	v_pk_mul_f32 v[50:51], v[28:29], v[50:51]                  // 000000004974: D3B14032 1802651C
	v_pk_mul_f32 v[52:53], v[28:29], v[52:53]                  // 00000000497C: D3B14034 1802691C
	v_pk_mul_f32 v[54:55], v[28:29], v[54:55]                  // 000000004984: D3B14036 18026D1C
	v_pk_mul_f32 v[56:57], v[28:29], v[56:57]                  // 00000000498C: D3B14038 1802711C
	v_pk_mul_f32 v[58:59], v[28:29], v[58:59]                  // 000000004994: D3B1403A 1802751C
	v_pk_mul_f32 v[60:61], v[28:29], v[60:61]                  // 00000000499C: D3B1403C 1802791C
	v_pk_mul_f32 v[62:63], v[28:29], v[62:63]                  // 0000000049A4: D3B1403E 18027D1C
	v_pk_mul_f32 v[64:65], v[28:29], v[64:65]                  // 0000000049AC: D3B14040 1802811C
	v_pk_mul_f32 v[66:67], v[28:29], v[66:67]                  // 0000000049B4: D3B14042 1802851C
	v_pk_mul_f32 v[68:69], v[28:29], v[68:69]                  // 0000000049BC: D3B14044 1802891C
	v_pk_mul_f32 v[70:71], v[28:29], v[70:71]                  // 0000000049C4: D3B14046 18028D1C
	v_pk_mul_f32 v[72:73], v[28:29], v[72:73]                  // 0000000049CC: D3B14048 1802911C
	v_pk_mul_f32 v[74:75], v[28:29], v[74:75]                  // 0000000049D4: D3B1404A 1802951C
	v_pk_mul_f32 v[76:77], v[28:29], v[76:77]                  // 0000000049DC: D3B1404C 1802991C
	v_pk_mul_f32 v[78:79], v[28:29], v[78:79]                  // 0000000049E4: D3B1404E 18029D1C
	v_pk_mul_f32 v[80:81], v[28:29], v[80:81]                  // 0000000049EC: D3B14050 1802A11C
	v_pk_mul_f32 v[82:83], v[28:29], v[82:83]                  // 0000000049F4: D3B14052 1802A51C
	v_pk_mul_f32 v[84:85], v[28:29], v[84:85]                  // 0000000049FC: D3B14054 1802A91C
	v_pk_mul_f32 v[86:87], v[28:29], v[86:87]                  // 000000004A04: D3B14056 1802AD1C
	v_pk_mul_f32 v[88:89], v[28:29], v[88:89]                  // 000000004A0C: D3B14058 1802B11C
	v_pk_mul_f32 v[90:91], v[28:29], v[90:91]                  // 000000004A14: D3B1405A 1802B51C
	v_pk_mul_f32 v[92:93], v[28:29], v[92:93]                  // 000000004A1C: D3B1405C 1802B91C
	v_pk_mul_f32 v[94:95], v[28:29], v[94:95]                  // 000000004A24: D3B1405E 1802BD1C
	v_pk_mul_f32 v[96:97], v[28:29], v[96:97]                  // 000000004A2C: D3B14060 1802C11C
	v_pk_mul_f32 v[98:99], v[28:29], v[98:99]                  // 000000004A34: D3B14062 1802C51C
	v_pk_mul_f32 v[100:101], v[28:29], v[100:101]              // 000000004A3C: D3B14064 1802C91C
	v_pk_mul_f32 v[102:103], v[28:29], v[102:103]              // 000000004A44: D3B14066 1802CD1C
	v_pk_mul_f32 v[104:105], v[28:29], v[104:105]              // 000000004A4C: D3B14068 1802D11C
	v_pk_mul_f32 v[106:107], v[28:29], v[106:107]              // 000000004A54: D3B1406A 1802D51C
	v_pk_mul_f32 v[108:109], v[28:29], v[108:109]              // 000000004A5C: D3B1406C 1802D91C
	v_pk_mul_f32 v[110:111], v[28:29], v[110:111]              // 000000004A64: D3B1406E 1802DD1C
	v_pk_mul_f32 v[112:113], v[28:29], v[112:113]              // 000000004A6C: D3B14070 1802E11C
	v_pk_mul_f32 v[114:115], v[28:29], v[114:115]              // 000000004A74: D3B14072 1802E51C
	v_pk_mul_f32 v[116:117], v[28:29], v[116:117]              // 000000004A7C: D3B14074 1802E91C
	v_pk_mul_f32 v[118:119], v[28:29], v[118:119]              // 000000004A84: D3B14076 1802ED1C
	v_pk_mul_f32 v[120:121], v[28:29], v[120:121]              // 000000004A8C: D3B14078 1802F11C
	v_pk_mul_f32 v[122:123], v[28:29], v[122:123]              // 000000004A94: D3B1407A 1802F51C
	v_pk_mul_f32 v[124:125], v[28:29], v[124:125]              // 000000004A9C: D3B1407C 1802F91C
	v_pk_mul_f32 v[126:127], v[28:29], v[126:127]              // 000000004AA4: D3B1407E 1802FD1C
	v_pk_mul_f32 v[128:129], v[28:29], v[128:129]              // 000000004AAC: D3B14080 1803011C
	v_pk_mul_f32 v[130:131], v[28:29], v[130:131]              // 000000004AB4: D3B14082 1803051C
	v_pk_mul_f32 v[132:133], v[28:29], v[132:133]              // 000000004ABC: D3B14084 1803091C
	v_pk_mul_f32 v[134:135], v[28:29], v[134:135]              // 000000004AC4: D3B14086 18030D1C
	v_pk_mul_f32 v[136:137], v[28:29], v[136:137]              // 000000004ACC: D3B14088 1803111C
	v_pk_mul_f32 v[138:139], v[28:29], v[138:139]              // 000000004AD4: D3B1408A 1803151C
	v_pk_mul_f32 v[140:141], v[28:29], v[140:141]              // 000000004ADC: D3B1408C 1803191C
	v_pk_mul_f32 v[142:143], v[28:29], v[142:143]              // 000000004AE4: D3B1408E 18031D1C
	v_pk_mul_f32 v[144:145], v[28:29], v[144:145]              // 000000004AEC: D3B14090 1803211C
	v_pk_mul_f32 v[146:147], v[28:29], v[146:147]              // 000000004AF4: D3B14092 1803251C
	v_pk_mul_f32 v[148:149], v[28:29], v[148:149]              // 000000004AFC: D3B14094 1803291C
	v_pk_mul_f32 v[150:151], v[28:29], v[150:151]              // 000000004B04: D3B14096 18032D1C
	v_pk_mul_f32 v[152:153], v[28:29], v[152:153]              // 000000004B0C: D3B14098 1803311C
	v_pk_mul_f32 v[154:155], v[28:29], v[154:155]              // 000000004B14: D3B1409A 1803351C
	v_pk_mul_f32 v[156:157], v[28:29], v[156:157]              // 000000004B1C: D3B1409C 1803391C
	v_pk_mul_f32 v[158:159], v[28:29], v[158:159]              // 000000004B24: D3B1409E 18033D1C
	v_pk_mul_f32 v[160:161], v[28:29], v[160:161]              // 000000004B2C: D3B140A0 1803411C
	v_pk_mul_f32 v[162:163], v[28:29], v[162:163]              // 000000004B34: D3B140A2 1803451C
	v_pk_mul_f32 v[164:165], v[28:29], v[164:165]              // 000000004B3C: D3B140A4 1803491C
	v_pk_mul_f32 v[166:167], v[28:29], v[166:167]              // 000000004B44: D3B140A6 18034D1C
	v_pk_mul_f32 v[168:169], v[28:29], v[168:169]              // 000000004B4C: D3B140A8 1803511C
	v_pk_mul_f32 v[170:171], v[28:29], v[170:171]              // 000000004B54: D3B140AA 1803551C
	v_pk_mul_f32 v[172:173], v[28:29], v[172:173]              // 000000004B5C: D3B140AC 1803591C
	s_waitcnt lgkmcnt(0)                                       // 000000004B64: BF8CC07F
	v_mfma_f32_16x16x16_bf16 v[46:49], a[144:145], v[38:39], v[46:49]// 000000004B68: D3E1002E 0CBA4D90
	ds_read_b128 a[176:179], v9 offset:45312                   // 000000004B70: DBFEB100 B0000009
	ds_read_b128 a[180:183], v9 offset:46336                   // 000000004B78: DBFEB500 B4000009
	v_mfma_f32_16x16x16_bf16 v[50:53], a[146:147], v[38:39], v[50:53]// 000000004B80: D3E10032 0CCA4D92
	ds_write_b64 v182, v[188:189] offset:512                   // 000000004B88: D89A0200 0000BCB6
	v_mfma_f32_16x16x16_bf16 v[54:57], a[148:149], v[38:39], v[54:57]// 000000004B90: D3E10036 0CDA4D94
	ds_write_b64 v182, v[190:191] offset:768                   // 000000004B98: D89A0300 0000BEB6
	v_mfma_f32_16x16x16_bf16 v[58:61], a[150:151], v[38:39], v[58:61]// 000000004BA0: D3E1003A 0CEA4D96
	ds_write_b64 v182, v[192:193] offset:1024                  // 000000004BA8: D89A0400 0000C0B6
	v_mfma_f32_16x16x16_bf16 v[62:65], a[152:153], v[38:39], v[62:65]// 000000004BB0: D3E1003E 0CFA4D98
	ds_read_b128 a[184:187], v9 offset:47360                   // 000000004BB8: DBFEB900 B8000009
	ds_read_b128 a[188:191], v9 offset:48384                   // 000000004BC0: DBFEBD00 BC000009
	v_mfma_f32_16x16x16_bf16 v[66:69], a[154:155], v[38:39], v[66:69]// 000000004BC8: D3E10042 0D0A4D9A
	ds_write_b64 v182, v[194:195] offset:1280                  // 000000004BD0: D89A0500 0000C2B6
	v_mfma_f32_16x16x16_bf16 v[70:73], a[156:157], v[38:39], v[70:73]// 000000004BD8: D3E10046 0D1A4D9C
	ds_write_b64 v182, v[196:197] offset:1536                  // 000000004BE0: D89A0600 0000C4B6
	v_mfma_f32_16x16x16_bf16 v[74:77], a[158:159], v[38:39], v[74:77]// 000000004BE8: D3E1004A 0D2A4D9E
	ds_write_b64 v182, v[198:199] offset:1792                  // 000000004BF0: D89A0700 0000C6B6
	v_mfma_f32_16x16x16_bf16 v[78:81], a[160:161], v[38:39], v[78:81]// 000000004BF8: D3E1004E 0D3A4DA0
	ds_read_b128 a[192:195], v9 offset:49408                   // 000000004C00: DBFEC100 C0000009
	ds_read_b128 a[196:199], v9 offset:50432                   // 000000004C08: DBFEC500 C4000009
	v_mfma_f32_16x16x16_bf16 v[82:85], a[162:163], v[38:39], v[82:85]// 000000004C10: D3E10052 0D4A4DA2
	v_mfma_f32_16x16x16_bf16 v[86:89], a[164:165], v[38:39], v[86:89]// 000000004C18: D3E10056 0D5A4DA4
	ds_write_b64 v182, v[200:201] offset:2048                  // 000000004C20: D89A0800 0000C8B6
	v_mfma_f32_16x16x16_bf16 v[90:93], a[166:167], v[38:39], v[90:93]// 000000004C28: D3E1005A 0D6A4DA6
	s_waitcnt lgkmcnt(4)                                       // 000000004C30: BF8CC47F
	v_mfma_f32_16x16x16_bf16 v[94:97], a[168:169], v[38:39], v[94:97]// 000000004C34: D3E1005E 0D7A4DA8
	ds_read_b128 a[200:203], v9 offset:51456                   // 000000004C3C: DBFEC900 C8000009
	ds_read_b128 a[204:207], v9 offset:52480                   // 000000004C44: DBFECD00 CC000009
	v_mfma_f32_16x16x16_bf16 v[98:101], a[170:171], v[38:39], v[98:101]// 000000004C4C: D3E10062 0D8A4DAA
	v_mfma_f32_16x16x16_bf16 v[102:105], a[172:173], v[38:39], v[102:105]// 000000004C54: D3E10066 0D9A4DAC
	v_mfma_f32_16x16x16_bf16 v[106:109], a[174:175], v[38:39], v[106:109]// 000000004C5C: D3E1006A 0DAA4DAE
	v_mfma_f32_16x16x16_bf16 v[110:113], a[176:177], v[38:39], v[110:113]// 000000004C64: D3E1006E 0DBA4DB0
	v_mfma_f32_16x16x16_bf16 v[114:117], a[178:179], v[38:39], v[114:117]// 000000004C6C: D3E10072 0DCA4DB2
	v_mfma_f32_16x16x16_bf16 v[118:121], a[180:181], v[38:39], v[118:121]// 000000004C74: D3E10076 0DDA4DB4
	s_waitcnt vmcnt(10) lgkmcnt(9)                             // 000000004C7C: BF8C097A
	s_barrier                                                  // 000000004C80: BF8A0000
	v_mfma_f32_16x16x16_bf16 v[122:125], a[182:183], v[38:39], v[122:125]// 000000004C84: D3E1007A 0DEA4DB6
	v_mfma_f32_16x16x16_bf16 v[126:129], a[184:185], v[38:39], v[126:129]// 000000004C8C: D3E1007E 0DFA4DB8
	ds_read_b64 v[26:27], v7                                   // 000000004C94: D8EC0000 1A000007
	ds_read_b64 v[28:29], v7 offset:4640                       // 000000004C9C: D8EC1220 1C000007
	v_mfma_f32_16x16x16_bf16 v[130:133], a[186:187], v[38:39], v[130:133]// 000000004CA4: D3E10082 0E0A4DBA
	ds_read_b64 v[30:31], v7 offset:9280                       // 000000004CAC: D8EC2440 1E000007
	ds_read_b64 v[32:33], v7 offset:13920                      // 000000004CB4: D8EC3660 20000007
	v_mfma_f32_16x16x16_bf16 v[134:137], a[188:189], v[38:39], v[134:137]// 000000004CBC: D3E10086 0E1A4DBC
	ds_read_b128 a[144:147], v6                                // 000000004CC4: DBFE0000 90000006
	v_mfma_f32_16x16x16_bf16 v[138:141], a[190:191], v[38:39], v[138:141]// 000000004CCC: D3E1008A 0E2A4DBE
	ds_read_b128 a[148:151], v6 offset:64                      // 000000004CD4: DBFE0040 94000006
	v_mfma_f32_16x16x16_bf16 v[142:145], a[192:193], v[38:39], v[142:145]// 000000004CDC: D3E1008E 0E3A4DC0
	ds_read_b128 a[152:155], v6 offset:256                     // 000000004CE4: DBFE0100 98000006
	v_mfma_f32_16x16x16_bf16 v[146:149], a[194:195], v[38:39], v[146:149]// 000000004CEC: D3E10092 0E4A4DC2
	ds_read_b128 a[156:159], v6 offset:320                     // 000000004CF4: DBFE0140 9C000006
	v_mfma_f32_16x16x16_bf16 v[150:153], a[196:197], v[38:39], v[150:153]// 000000004CFC: D3E10096 0E5A4DC4
	ds_read_b128 a[160:163], v6 offset:512                     // 000000004D04: DBFE0200 A0000006
	v_mfma_f32_16x16x16_bf16 v[154:157], a[198:199], v[38:39], v[154:157]// 000000004D0C: D3E1009A 0E6A4DC6
	ds_read_b128 a[164:167], v6 offset:576                     // 000000004D14: DBFE0240 A4000006
	v_mfma_f32_16x16x16_bf16 v[158:161], a[200:201], v[38:39], v[158:161]// 000000004D1C: D3E1009E 0E7A4DC8
	ds_read_b128 a[168:171], v6 offset:768                     // 000000004D24: DBFE0300 A8000006
	v_mfma_f32_16x16x16_bf16 v[162:165], a[202:203], v[38:39], v[162:165]// 000000004D2C: D3E100A2 0E8A4DCA
	ds_read_b128 a[172:175], v6 offset:832                     // 000000004D34: DBFE0340 AC000006
	v_mfma_f32_16x16x16_bf16 v[166:169], a[204:205], v[38:39], v[166:169]// 000000004D3C: D3E100A6 0E9A4DCC
	s_waitcnt lgkmcnt(8)                                       // 000000004D44: BF8CC87F
	v_perm_b32 v174, v28, v26, s53                             // 000000004D48: D1ED00AE 00D6351C
	v_perm_b32 v176, v28, v26, s52                             // 000000004D50: D1ED00B0 00D2351C
	v_perm_b32 v175, v32, v30, s53                             // 000000004D58: D1ED00AF 00D63D20
	v_perm_b32 v177, v32, v30, s52                             // 000000004D60: D1ED00B1 00D23D20
	v_mfma_f32_16x16x16_bf16 v[170:173], a[206:207], v[38:39], v[170:173]// 000000004D68: D3E100AA 0EAA4DCE
	ds_write_b128 v8, v[174:177] offset:37120                  // 000000004D70: D9BE9100 0000AE08
	v_perm_b32 v174, v29, v27, s53                             // 000000004D78: D1ED00AE 00D6371D
	v_perm_b32 v176, v29, v27, s52                             // 000000004D80: D1ED00B0 00D2371D
	v_perm_b32 v175, v33, v31, s53                             // 000000004D88: D1ED00AF 00D63F21
	v_perm_b32 v177, v33, v31, s52                             // 000000004D90: D1ED00B1 00D23F21
	ds_write_b128 v8, v[174:177] offset:38144                  // 000000004D98: D9BE9500 0000AE08
	ds_read_b64 v[26:27], v7 offset:1024                       // 000000004DA0: D8EC0400 1A000007
	ds_read_b64 v[28:29], v7 offset:5664                       // 000000004DA8: D8EC1620 1C000007
	ds_read_b64 v[30:31], v7 offset:10304                      // 000000004DB0: D8EC2840 1E000007
	ds_read_b64 v[32:33], v7 offset:14944                      // 000000004DB8: D8EC3A60 20000007
	s_nop 0                                                    // 000000004DC0: BF800000
	s_addk_i32 s70, 0x1                                        // 000000004DC4: B7460001
	s_cmp_lt_i32 s70, s71                                      // 000000004DC8: BF044746
	s_cbranch_scc0 label_0AB5                                  // 000000004DCC: BF840001
	s_branch label_04E6                                        // 000000004DD0: BF82FA31

0000000000004dd4 <label_0AB5>:
	s_nop 0                                                    // 000000004DD4: BF800000
	s_nop 0                                                    // 000000004DD8: BF800000
	s_branch label_1087                                        // 000000004DDC: BF8205CF

0000000000004de0 <label_0AB8>:
	s_waitcnt lgkmcnt(4)                                       // 000000004DE0: BF8CC47F
	s_waitcnt vmcnt(0)                                         // 000000004DE4: BF8C0F70
	v_mfma_f32_16x16x16_bf16 v[38:41], a[144:145], a[0:1], 0   // 000000004DE8: D3E10026 1A020190
	buffer_load_dword v12, v10, s[24:27], 0 offen              // 000000004DF0: E0501000 80060C0A
	v_mfma_f32_16x16x16_bf16 v[38:41], a[146:147], a[2:3], v[38:41]// 000000004DF8: D3E10026 1C9A0592
	s_barrier                                                  // 000000004E00: BF8A0000
	ds_read_b128 a[176:179], v6 offset:1024                    // 000000004E04: DBFE0400 B0000006
	ds_read_b128 a[180:183], v6 offset:1088                    // 000000004E0C: DBFE0440 B4000006
	v_mfma_f32_16x16x16_bf16 v[38:41], a[148:149], a[4:5], v[38:41]// 000000004E14: D3E10026 1C9A0994
	v_mov_b32_e32 v228, v210                                   // 000000004E1C: 7FC803D2
	v_cvt_pk_f32_fp8_sdwa v[228:229], v210 src0_sel:WORD_0     // 000000004E20: 7FC8ACF9 000406D2
	v_cvt_pk_f32_fp8_sdwa v[230:231], v210 src0_sel:WORD_1     // 000000004E28: 7FCCACF9 000506D2
	v_mul_f32_dpp v228, v233, v228 row_newbcast:0 row_mask:0xf bank_mask:0xf// 000000004E30: 0BC9C8FA FF0150E9
	v_mul_f32_dpp v229, v233, v229 row_newbcast:0 row_mask:0xf bank_mask:0xf// 000000004E38: 0BCBCAFA FF0150E9
	v_mul_f32_dpp v230, v233, v230 row_newbcast:0 row_mask:0xf bank_mask:0xf// 000000004E40: 0BCDCCFA FF0150E9
	v_mul_f32_dpp v231, v233, v231 row_newbcast:0 row_mask:0xf bank_mask:0xf// 000000004E48: 0BCFCEFA FF0150E9
	v_perm_b32 v202, v229, v228, s52                           // 000000004E50: D1ED00CA 00D3C9E5
	v_perm_b32 v203, v231, v230, s52                           // 000000004E58: D1ED00CB 00D3CDE7
	v_mfma_f32_16x16x16_bf16 v[38:41], a[150:151], a[6:7], v[38:41]// 000000004E60: D3E10026 1C9A0D96
	v_mov_b32_e32 v228, v211                                   // 000000004E68: 7FC803D3
	v_cvt_pk_f32_fp8_sdwa v[228:229], v211 src0_sel:WORD_0     // 000000004E6C: 7FC8ACF9 000406D3
	v_cvt_pk_f32_fp8_sdwa v[230:231], v211 src0_sel:WORD_1     // 000000004E74: 7FCCACF9 000506D3
	v_mul_f32_dpp v228, v233, v228 row_newbcast:0 row_mask:0xf bank_mask:0xf// 000000004E7C: 0BC9C8FA FF0150E9
	v_mul_f32_dpp v229, v233, v229 row_newbcast:0 row_mask:0xf bank_mask:0xf// 000000004E84: 0BCBCAFA FF0150E9
	v_mul_f32_dpp v230, v233, v230 row_newbcast:0 row_mask:0xf bank_mask:0xf// 000000004E8C: 0BCDCCFA FF0150E9
	v_mul_f32_dpp v231, v233, v231 row_newbcast:0 row_mask:0xf bank_mask:0xf// 000000004E94: 0BCFCEFA FF0150E9
	v_perm_b32 v204, v229, v228, s52                           // 000000004E9C: D1ED00CC 00D3C9E5
	v_perm_b32 v205, v231, v230, s52                           // 000000004EA4: D1ED00CD 00D3CDE7
	v_mfma_f32_16x16x16_bf16 v[38:41], a[152:153], a[8:9], v[38:41]// 000000004EAC: D3E10026 1C9A1198
	v_mfma_f32_16x16x16_bf16 v[38:41], a[154:155], a[10:11], v[38:41]// 000000004EB4: D3E10026 1C9A159A
	s_barrier                                                  // 000000004EBC: BF8A0000
	ds_read_b128 a[184:187], v6 offset:1280                    // 000000004EC0: DBFE0500 B8000006
	ds_read_b128 a[188:191], v6 offset:1344                    // 000000004EC8: DBFE0540 BC000006
	v_mfma_f32_16x16x16_bf16 v[38:41], a[156:157], a[12:13], v[38:41]// 000000004ED0: D3E10026 1C9A199C
	v_mov_b32_e32 v228, v212                                   // 000000004ED8: 7FC803D4
	v_cvt_pk_f32_fp8_sdwa v[228:229], v212 src0_sel:WORD_0     // 000000004EDC: 7FC8ACF9 000406D4
	v_cvt_pk_f32_fp8_sdwa v[230:231], v212 src0_sel:WORD_1     // 000000004EE4: 7FCCACF9 000506D4
	v_mul_f32_dpp v228, v233, v228 row_newbcast:1 row_mask:0xf bank_mask:0xf// 000000004EEC: 0BC9C8FA FF0151E9
	v_mul_f32_dpp v229, v233, v229 row_newbcast:1 row_mask:0xf bank_mask:0xf// 000000004EF4: 0BCBCAFA FF0151E9
	v_mul_f32_dpp v230, v233, v230 row_newbcast:1 row_mask:0xf bank_mask:0xf// 000000004EFC: 0BCDCCFA FF0151E9
	v_mul_f32_dpp v231, v233, v231 row_newbcast:1 row_mask:0xf bank_mask:0xf// 000000004F04: 0BCFCEFA FF0151E9
	v_perm_b32 v206, v229, v228, s52                           // 000000004F0C: D1ED00CE 00D3C9E5
	v_perm_b32 v207, v231, v230, s52                           // 000000004F14: D1ED00CF 00D3CDE7
	v_mfma_f32_16x16x16_bf16 v[38:41], a[158:159], a[14:15], v[38:41]// 000000004F1C: D3E10026 1C9A1D9E
	s_waitcnt lgkmcnt(4)                                       // 000000004F24: BF8CC47F
	v_mfma_f32_16x16x16_bf16 v[38:41], a[160:161], a[16:17], v[38:41]// 000000004F28: D3E10026 1C9A21A0
	v_mfma_f32_16x16x16_bf16 v[38:41], a[162:163], a[18:19], v[38:41]// 000000004F30: D3E10026 1C9A25A2
	s_barrier                                                  // 000000004F38: BF8A0000
	ds_read_b128 a[192:195], v6 offset:1536                    // 000000004F3C: DBFE0600 C0000006
	ds_read_b128 a[196:199], v6 offset:1600                    // 000000004F44: DBFE0640 C4000006
	v_mfma_f32_16x16x16_bf16 v[38:41], a[164:165], a[20:21], v[38:41]// 000000004F4C: D3E10026 1C9A29A4
	v_mov_b32_e32 v228, v213                                   // 000000004F54: 7FC803D5
	v_cvt_pk_f32_fp8_sdwa v[228:229], v213 src0_sel:WORD_0     // 000000004F58: 7FC8ACF9 000406D5
	v_cvt_pk_f32_fp8_sdwa v[230:231], v213 src0_sel:WORD_1     // 000000004F60: 7FCCACF9 000506D5
	v_mul_f32_dpp v228, v233, v228 row_newbcast:1 row_mask:0xf bank_mask:0xf// 000000004F68: 0BC9C8FA FF0151E9
	v_mul_f32_dpp v229, v233, v229 row_newbcast:1 row_mask:0xf bank_mask:0xf// 000000004F70: 0BCBCAFA FF0151E9
	v_mul_f32_dpp v230, v233, v230 row_newbcast:1 row_mask:0xf bank_mask:0xf// 000000004F78: 0BCDCCFA FF0151E9
	v_mul_f32_dpp v231, v233, v231 row_newbcast:1 row_mask:0xf bank_mask:0xf// 000000004F80: 0BCFCEFA FF0151E9
	v_perm_b32 v208, v229, v228, s52                           // 000000004F88: D1ED00D0 00D3C9E5
	v_perm_b32 v209, v231, v230, s52                           // 000000004F90: D1ED00D1 00D3CDE7
	v_mfma_f32_16x16x16_bf16 v[38:41], a[166:167], a[22:23], v[38:41]// 000000004F98: D3E10026 1C9A2DA6
	v_mov_b32_e32 v228, v214                                   // 000000004FA0: 7FC803D6
	v_cvt_pk_f32_fp8_sdwa v[228:229], v214 src0_sel:WORD_0     // 000000004FA4: 7FC8ACF9 000406D6
	v_cvt_pk_f32_fp8_sdwa v[230:231], v214 src0_sel:WORD_1     // 000000004FAC: 7FCCACF9 000506D6
	v_mul_f32_dpp v228, v233, v228 row_newbcast:2 row_mask:0xf bank_mask:0xf// 000000004FB4: 0BC9C8FA FF0152E9
	v_mul_f32_dpp v229, v233, v229 row_newbcast:2 row_mask:0xf bank_mask:0xf// 000000004FBC: 0BCBCAFA FF0152E9
	v_mul_f32_dpp v230, v233, v230 row_newbcast:2 row_mask:0xf bank_mask:0xf// 000000004FC4: 0BCDCCFA FF0152E9
	v_mul_f32_dpp v231, v233, v231 row_newbcast:2 row_mask:0xf bank_mask:0xf// 000000004FCC: 0BCFCEFA FF0152E9
	v_perm_b32 v210, v229, v228, s52                           // 000000004FD4: D1ED00D2 00D3C9E5
	v_perm_b32 v211, v231, v230, s52                           // 000000004FDC: D1ED00D3 00D3CDE7
	v_mfma_f32_16x16x16_bf16 v[38:41], a[168:169], a[24:25], v[38:41]// 000000004FE4: D3E10026 1C9A31A8
	v_mfma_f32_16x16x16_bf16 v[38:41], a[170:171], a[26:27], v[38:41]// 000000004FEC: D3E10026 1C9A35AA
	s_barrier                                                  // 000000004FF4: BF8A0000
	ds_read_b128 a[200:203], v6 offset:1792                    // 000000004FF8: DBFE0700 C8000006
	ds_read_b128 a[204:207], v6 offset:1856                    // 000000005000: DBFE0740 CC000006
	v_mfma_f32_16x16x16_bf16 v[38:41], a[172:173], a[28:29], v[38:41]// 000000005008: D3E10026 1C9A39AC
	v_mov_b32_e32 v228, v215                                   // 000000005010: 7FC803D7
	v_cvt_pk_f32_fp8_sdwa v[228:229], v215 src0_sel:WORD_0     // 000000005014: 7FC8ACF9 000406D7
	v_cvt_pk_f32_fp8_sdwa v[230:231], v215 src0_sel:WORD_1     // 00000000501C: 7FCCACF9 000506D7
	v_mul_f32_dpp v228, v233, v228 row_newbcast:2 row_mask:0xf bank_mask:0xf// 000000005024: 0BC9C8FA FF0152E9
	v_mul_f32_dpp v229, v233, v229 row_newbcast:2 row_mask:0xf bank_mask:0xf// 00000000502C: 0BCBCAFA FF0152E9
	v_mul_f32_dpp v230, v233, v230 row_newbcast:2 row_mask:0xf bank_mask:0xf// 000000005034: 0BCDCCFA FF0152E9
	v_mul_f32_dpp v231, v233, v231 row_newbcast:2 row_mask:0xf bank_mask:0xf// 00000000503C: 0BCFCEFA FF0152E9
	v_perm_b32 v212, v229, v228, s52                           // 000000005044: D1ED00D4 00D3C9E5
	v_perm_b32 v213, v231, v230, s52                           // 00000000504C: D1ED00D5 00D3CDE7
	v_mfma_f32_16x16x16_bf16 v[38:41], a[174:175], a[30:31], v[38:41]// 000000005054: D3E10026 1C9A3DAE
	s_waitcnt lgkmcnt(4)                                       // 00000000505C: BF8CC47F
	s_barrier                                                  // 000000005060: BF8A0000
	v_mfma_f32_16x16x16_bf16 v[38:41], a[176:177], a[32:33], v[38:41]// 000000005064: D3E10026 1C9A41B0
	buffer_load_dword v192, v22, s[20:23], 0 offen             // 00000000506C: E0501000 8005C016
	v_mfma_f32_16x16x16_bf16 v[38:41], a[178:179], a[34:35], v[38:41]// 000000005074: D3E10026 1C9A45B2
	s_barrier                                                  // 00000000507C: BF8A0000
	ds_read_b128 a[208:211], v6 offset:2048                    // 000000005080: DBFE0800 D0000006
	ds_read_b128 a[212:215], v6 offset:2112                    // 000000005088: DBFE0840 D4000006
	v_mov_b32_e32 v228, v216                                   // 000000005090: 7FC803D8
	v_cvt_pk_f32_fp8_sdwa v[228:229], v216 src0_sel:WORD_0     // 000000005094: 7FC8ACF9 000406D8
	v_cvt_pk_f32_fp8_sdwa v[230:231], v216 src0_sel:WORD_1     // 00000000509C: 7FCCACF9 000506D8
	v_mul_f32_dpp v228, v233, v228 row_newbcast:3 row_mask:0xf bank_mask:0xf// 0000000050A4: 0BC9C8FA FF0153E9
	v_mul_f32_dpp v229, v233, v229 row_newbcast:3 row_mask:0xf bank_mask:0xf// 0000000050AC: 0BCBCAFA FF0153E9
	v_mul_f32_dpp v230, v233, v230 row_newbcast:3 row_mask:0xf bank_mask:0xf// 0000000050B4: 0BCDCCFA FF0153E9
	v_mul_f32_dpp v231, v233, v231 row_newbcast:3 row_mask:0xf bank_mask:0xf// 0000000050BC: 0BCFCEFA FF0153E9
	v_perm_b32 v214, v229, v228, s52                           // 0000000050C4: D1ED00D6 00D3C9E5
	v_perm_b32 v215, v231, v230, s52                           // 0000000050CC: D1ED00D7 00D3CDE7
	v_mfma_f32_16x16x16_bf16 v[38:41], a[180:181], a[36:37], v[38:41]// 0000000050D4: D3E10026 1C9A49B4
	buffer_load_dword v193, v22, s[20:23], 0 offen offset:64   // 0000000050DC: E0501040 8005C116
	v_mfma_f32_16x16x16_bf16 v[38:41], a[182:183], a[38:39], v[38:41]// 0000000050E4: D3E10026 1C9A4DB6
	v_perm_b32 v174, v28, v26, s53                             // 0000000050EC: D1ED00AE 00D6351C
	v_perm_b32 v176, v28, v26, s52                             // 0000000050F4: D1ED00B0 00D2351C
	v_perm_b32 v175, v32, v30, s53                             // 0000000050FC: D1ED00AF 00D63D20
	v_perm_b32 v177, v32, v30, s52                             // 000000005104: D1ED00B1 00D23D20
	v_mfma_f32_16x16x16_bf16 v[38:41], a[184:185], a[40:41], v[38:41]// 00000000510C: D3E10026 1C9A51B8
	buffer_load_dword v194, v22, s[20:23], 0 offen offset:128  // 000000005114: E0501080 8005C216
	v_mfma_f32_16x16x16_bf16 v[38:41], a[186:187], a[42:43], v[38:41]// 00000000511C: D3E10026 1C9A55BA
	s_barrier                                                  // 000000005124: BF8A0000
	ds_write_b128 v8, v[174:177] offset:45312                  // 000000005128: D9BEB100 0000AE08
	v_mfma_f32_16x16x16_bf16 v[38:41], a[188:189], a[44:45], v[38:41]// 000000005130: D3E10026 1C9A59BC
	buffer_load_dword v195, v22, s[20:23], 0 offen offset:192  // 000000005138: E05010C0 8005C316
	v_mfma_f32_16x16x16_bf16 v[38:41], a[190:191], a[46:47], v[38:41]// 000000005140: D3E10026 1C9A5DBE
	v_perm_b32 v174, v29, v27, s53                             // 000000005148: D1ED00AE 00D6371D
	v_perm_b32 v176, v29, v27, s52                             // 000000005150: D1ED00B0 00D2371D
	v_perm_b32 v175, v33, v31, s53                             // 000000005158: D1ED00AF 00D63F21
	v_perm_b32 v177, v33, v31, s52                             // 000000005160: D1ED00B1 00D23F21
	s_waitcnt lgkmcnt(1)                                       // 000000005168: BF8CC17F
	s_barrier                                                  // 00000000516C: BF8A0000
	v_mfma_f32_16x16x16_bf16 v[38:41], a[192:193], a[48:49], v[38:41]// 000000005170: D3E10026 1C9A61C0
	buffer_load_dword v196, v22, s[20:23], 0 offen offset:256  // 000000005178: E0501100 8005C416
	v_mfma_f32_16x16x16_bf16 v[38:41], a[194:195], a[50:51], v[38:41]// 000000005180: D3E10026 1C9A65C2
	s_barrier                                                  // 000000005188: BF8A0000
	ds_write_b128 v8, v[174:177] offset:46336                  // 00000000518C: D9BEB500 0000AE08
	v_mfma_f32_16x16x16_bf16 v[38:41], a[196:197], a[52:53], v[38:41]// 000000005194: D3E10026 1C9A69C4
	v_mov_b32_e32 v228, v217                                   // 00000000519C: 7FC803D9
	v_cvt_pk_f32_fp8_sdwa v[228:229], v217 src0_sel:WORD_0     // 0000000051A0: 7FC8ACF9 000406D9
	v_cvt_pk_f32_fp8_sdwa v[230:231], v217 src0_sel:WORD_1     // 0000000051A8: 7FCCACF9 000506D9
	v_mul_f32_dpp v228, v233, v228 row_newbcast:3 row_mask:0xf bank_mask:0xf// 0000000051B0: 0BC9C8FA FF0153E9
	v_mul_f32_dpp v229, v233, v229 row_newbcast:3 row_mask:0xf bank_mask:0xf// 0000000051B8: 0BCBCAFA FF0153E9
	v_mul_f32_dpp v230, v233, v230 row_newbcast:3 row_mask:0xf bank_mask:0xf// 0000000051C0: 0BCDCCFA FF0153E9
	v_mul_f32_dpp v231, v233, v231 row_newbcast:3 row_mask:0xf bank_mask:0xf// 0000000051C8: 0BCFCEFA FF0153E9
	v_perm_b32 v216, v229, v228, s52                           // 0000000051D0: D1ED00D8 00D3C9E5
	v_perm_b32 v217, v231, v230, s52                           // 0000000051D8: D1ED00D9 00D3CDE7
	buffer_load_dword v197, v22, s[20:23], 0 offen offset:320  // 0000000051E0: E0501140 8005C516
	v_mfma_f32_16x16x16_bf16 v[38:41], a[198:199], a[54:55], v[38:41]// 0000000051E8: D3E10026 1C9A6DC6
	v_mfma_f32_16x16x16_bf16 v[38:41], a[200:201], a[56:57], v[38:41]// 0000000051F0: D3E10026 1C9A71C8
	buffer_load_dword v198, v22, s[20:23], 0 offen offset:384  // 0000000051F8: E0501180 8005C616
	v_mfma_f32_16x16x16_bf16 v[38:41], a[202:203], a[58:59], v[38:41]// 000000005200: D3E10026 1C9A75CA
	s_barrier                                                  // 000000005208: BF8A0000
	v_mfma_f32_16x16x16_bf16 v[38:41], a[204:205], a[60:61], v[38:41]// 00000000520C: D3E10026 1C9A79CC
	buffer_load_dword v199, v22, s[20:23], 0 offen offset:448  // 000000005214: E05011C0 8005C716
	v_mfma_f32_16x16x16_bf16 v[38:41], a[206:207], a[62:63], v[38:41]// 00000000521C: D3E10026 1C9A7DCE
	v_mfma_f32_16x16x16_bf16 v[38:41], a[208:209], a[64:65], v[38:41]// 000000005224: D3E10026 1C9A81D0
	buffer_load_dwordx2 v[200:201], v23, s[20:23], 0 offen     // 00000000522C: E0541000 8005C817
	v_mfma_f32_16x16x16_bf16 v[38:41], a[210:211], a[66:67], v[38:41]// 000000005234: D3E10026 1C9A85D2
	s_barrier                                                  // 00000000523C: BF8A0000
	v_mfma_f32_16x16x16_bf16 v[38:41], a[212:213], a[68:69], v[38:41]// 000000005240: D3E10026 1C9A89D4
	buffer_load_dword v232, v24, s[20:23], 0 offen             // 000000005248: E0501000 8005E818
	v_mfma_f32_16x16x16_bf16 v[38:41], a[214:215], a[70:71], v[38:41]// 000000005250: D3E10026 1C9A8DD6
	s_cmp_eq_i32 s98, 0                                        // 000000005258: BF008062
	s_cbranch_scc0 label_0BD9                                  // 00000000525C: BF840001
	v_add_u32_e32 v10, s73, v10                                // 000000005260: 68141449

0000000000005264 <label_0BD9>:
	s_add_u32 s98, 1, s98                                      // 000000005264: 80626281
	s_and_b32 s98, 3, s98                                      // 000000005268: 86626283
	s_cmp_le_i32 s83, s82                                      // 00000000526C: BF055253
	s_cbranch_scc1 label_0C01                                  // 000000005270: BF850024
	v_mov_b32_e32 v31, 0xff800000                              // 000000005274: 7E3E02FF FF800000
	s_add_u32 s57, s82, 0                                      // 00000000527C: 80398052
	v_mov_b32_e32 v30, s57                                     // 000000005280: 7E3C0239
	v_add_u32_e32 v30, s7, v30                                 // 000000005284: 683C3C07
	s_sub_u32 s56, s83, 15                                     // 000000005288: 80B88F53
	v_lshrrev_b32_e32 v26, 4, v0                               // 00000000528C: 20340084
	v_mul_i32_i24_e32 v26, 4, v26                              // 000000005290: 0C343484
	v_add_u32_e32 v26, s56, v26                                // 000000005294: 68343438
	v_add_u32_e32 v27, 1, v26                                  // 000000005298: 68363481
	v_add_u32_e32 v28, 2, v26                                  // 00000000529C: 68383482
	v_add_u32_e32 v29, 3, v26                                  // 0000000052A0: 683A3483
	v_cmp_le_u32_e64 s[38:39], v26, v30                        // 0000000052A4: D0CB0026 00023D1A
	v_add_u32_e32 v26, 64, v26                                 // 0000000052AC: 683434C0
	s_nop 0                                                    // 0000000052B0: BF800000
	v_cndmask_b32_e64 v38, v31, v38, s[38:39]                  // 0000000052B4: D1000026 009A4D1F
	v_cmp_le_u32_e64 s[38:39], v27, v30                        // 0000000052BC: D0CB0026 00023D1B
	v_add_u32_e32 v27, 64, v27                                 // 0000000052C4: 683636C0
	s_nop 0                                                    // 0000000052C8: BF800000
	v_cndmask_b32_e64 v39, v31, v39, s[38:39]                  // 0000000052CC: D1000027 009A4F1F
	v_cmp_le_u32_e64 s[38:39], v28, v30                        // 0000000052D4: D0CB0026 00023D1C
	v_add_u32_e32 v28, 64, v28                                 // 0000000052DC: 683838C0
	s_nop 0                                                    // 0000000052E0: BF800000
	v_cndmask_b32_e64 v40, v31, v40, s[38:39]                  // 0000000052E4: D1000028 009A511F
	v_cmp_le_u32_e64 s[38:39], v29, v30                        // 0000000052EC: D0CB0026 00023D1D
	v_add_u32_e32 v29, 64, v29                                 // 0000000052F4: 683A3AC0
	s_nop 0                                                    // 0000000052F8: BF800000
	v_cndmask_b32_e64 v41, v31, v41, s[38:39]                  // 0000000052FC: D1000029 009A531F

0000000000005304 <label_0C01>:
	s_waitcnt lgkmcnt(0)                                       // 000000005304: BF8CC07F
	s_barrier                                                  // 000000005308: BF8A0000
	v_max3_f32 v30, v38, v39, v38                              // 00000000530C: D1D3001E 049A4F26
	v_max3_f32 v30, v40, v41, v30                              // 000000005314: D1D3001E 047A5328
	ds_write_b32 v5, v30 offset:53504                          // 00000000531C: D81AD100 00001E05
	s_waitcnt lgkmcnt(0)                                       // 000000005324: BF8CC07F
	ds_read_b32 v26, v4 offset:53504                           // 000000005328: D86CD100 1A000004
	ds_read_b32 v27, v4 offset:53568                           // 000000005330: D86CD140 1B000004
	ds_read_b32 v28, v4 offset:53632                           // 000000005338: D86CD180 1C000004
	ds_read_b32 v29, v4 offset:53696                           // 000000005340: D86CD1C0 1D000004
	s_waitcnt lgkmcnt(0)                                       // 000000005348: BF8CC07F
	v_max3_f32 v30, v26, v27, v30                              // 00000000534C: D1D3001E 047A371A
	v_max3_f32 v30, v28, v29, v30                              // 000000005354: D1D3001E 047A3B1C
	ds_write_b64 v182, v[202:203] offset:18560                 // 00000000535C: D89A4880 0000CAB6
	ds_read_b128 a[144:147], v9 offset:37120                   // 000000005364: DBFE9100 90000009
	ds_read_b128 a[148:151], v9 offset:38144                   // 00000000536C: DBFE9500 94000009
	ds_write_b64 v182, v[204:205] offset:18816                 // 000000005374: D89A4980 0000CCB6
	ds_read_b128 a[152:155], v9 offset:39168                   // 00000000537C: DBFE9900 98000009
	ds_read_b128 a[156:159], v9 offset:40192                   // 000000005384: DBFE9D00 9C000009
	ds_write_b64 v182, v[206:207] offset:19072                 // 00000000538C: D89A4A80 0000CEB6
	ds_read_b128 a[160:163], v9 offset:41216                   // 000000005394: DBFEA100 A0000009
	ds_read_b128 a[164:167], v9 offset:42240                   // 00000000539C: DBFEA500 A4000009
	ds_write_b64 v182, v[208:209] offset:19328                 // 0000000053A4: D89A4B80 0000D0B6
	ds_read_b128 a[168:171], v9 offset:43264                   // 0000000053AC: DBFEA900 A8000009
	ds_read_b128 a[172:175], v9 offset:44288                   // 0000000053B4: DBFEAD00 AC000009
	v_mov_b32_e32 v31, 0xff7fffff                              // 0000000053BC: 7E3E02FF FF7FFFFF
	v_cmp_eq_u32_e64 s[38:39], v31, v16                        // 0000000053C4: D0CA0026 0002211F
	v_max_f32_e32 v26, v30, v16                                // 0000000053CC: 1634211E
	v_sub_f32_e32 v20, v16, v26                                // 0000000053D0: 04283510
	v_cndmask_b32_e64 v20, v20, 0, s[38:39]                    // 0000000053D4: D1000014 00990114
	v_mov_b32_e32 v16, v26                                     // 0000000053DC: 7E20031A
	v_mul_f32_e32 v27, s5, v26                                 // 0000000053E0: 0A363405
	v_mul_f32_e32 v20, s5, v20                                 // 0000000053E4: 0A282805
	v_exp_f32_e32 v20, v20                                     // 0000000053E8: 7E284114
	v_fma_f32 v38, v38, s5, -v27                               // 0000000053EC: D1CB0026 846C0B26
	v_fma_f32 v39, v39, s5, -v27                               // 0000000053F4: D1CB0027 846C0B27
	v_fma_f32 v40, v40, s5, -v27                               // 0000000053FC: D1CB0028 846C0B28
	v_fma_f32 v41, v41, s5, -v27                               // 000000005404: D1CB0029 846C0B29
	v_exp_f32_e32 v38, v38                                     // 00000000540C: 7E4C4126
	v_exp_f32_e32 v39, v39                                     // 000000005410: 7E4E4127
	v_exp_f32_e32 v40, v40                                     // 000000005414: 7E504128
	v_exp_f32_e32 v41, v41                                     // 000000005418: 7E524129
	v_mul_f32_e32 v18, v20, v18                                // 00000000541C: 0A242514
	v_mov_b32_e32 v28, v38                                     // 000000005420: 7E380326
	v_add_f32_e32 v28, v39, v28                                // 000000005424: 02383927
	v_add_f32_e32 v28, v40, v28                                // 000000005428: 02383928
	v_add_f32_e32 v28, v41, v28                                // 00000000542C: 02383929
	v_add_f32_e32 v18, v28, v18                                // 000000005430: 0224251C
	v_mov_b32_e32 v35, 0xffff0000                              // 000000005434: 7E4602FF FFFF0000
	v_mov_b32_e32 v36, 0x7fff0000                              // 00000000543C: 7E4802FF 7FFF0000
	v_mov_b32_e32 v37, 0x7fff                                  // 000000005444: 7E4A02FF 00007FFF
	v_cmp_u_f32_e64 s[38:39], v38, v38                         // 00000000544C: D0480026 00024D26
	v_add3_u32 v34, v38, v37, 1                                // 000000005454: D1FF0022 02064B26
	v_cndmask_b32_e64 v26, v34, v36, s[38:39]                  // 00000000545C: D100001A 009A4922
	v_cmp_u_f32_e64 s[38:39], v39, v39                         // 000000005464: D0480026 00024F27
	v_add3_u32 v34, v39, v37, 1                                // 00000000546C: D1FF0022 02064B27
	v_cndmask_b32_e64 v27, v34, v36, s[38:39]                  // 000000005474: D100001B 009A4922
	v_perm_b32 v38, v27, v26, s52                              // 00000000547C: D1ED0026 00D2351B
	v_cmp_u_f32_e64 s[38:39], v40, v40                         // 000000005484: D0480026 00025128
	v_add3_u32 v34, v40, v37, 1                                // 00000000548C: D1FF0022 02064B28
	v_cndmask_b32_e64 v26, v34, v36, s[38:39]                  // 000000005494: D100001A 009A4922
	v_cmp_u_f32_e64 s[38:39], v41, v41                         // 00000000549C: D0480026 00025329
	v_add3_u32 v34, v41, v37, 1                                // 0000000054A4: D1FF0022 02064B29
	v_cndmask_b32_e64 v27, v34, v36, s[38:39]                  // 0000000054AC: D100001B 009A4922
	v_perm_b32 v39, v27, v26, s52                              // 0000000054B4: D1ED0027 00D2351B
	s_nop 2                                                    // 0000000054BC: BF800002
	s_add_u32 s83, s84, s83                                    // 0000000054C0: 80535354
	s_nop 0                                                    // 0000000054C4: BF800000
	v_mul_u32_u24_e32 v26, v13, v14                            // 0000000054C8: 10341D0D
	v_add_u32_e32 v22, v26, v1                                 // 0000000054CC: 682C031A
	v_add_u32_e32 v23, v26, v2                                 // 0000000054D0: 682E051A
	v_add_u32_e32 v24, v26, v3                                 // 0000000054D4: 6830071A
	v_lshlrev_b32_e64 v26, 13, s97                             // 0000000054D8: D112001A 0000C28D
	v_add_u32_e32 v22, v26, v22                                // 0000000054E0: 682C2D1A
	v_lshlrev_b32_e64 v26, 11, s97                             // 0000000054E4: D112001A 0000C28B
	v_add_u32_e32 v23, v26, v23                                // 0000000054EC: 682E2F1A
	v_lshlrev_b32_e64 v26, 8, s97                              // 0000000054F0: D112001A 0000C288
	v_add_u32_e32 v24, v26, v24                                // 0000000054F8: 6830311A
	s_add_u32 s97, 1, s97                                      // 0000000054FC: 80616181
	s_and_b32 s97, 3, s97                                      // 000000005500: 86616183
	s_mov_b32 m0, s37                                          // 000000005504: BEFC0025
	v_mov_b32_e32 v28, v20                                     // 000000005508: 7E380314
	v_mov_b32_e32 v29, v20                                     // 00000000550C: 7E3A0314
	v_pk_mul_f32 v[46:47], v[28:29], v[46:47]                  // 000000005510: D3B1402E 18025D1C
	v_pk_mul_f32 v[48:49], v[28:29], v[48:49]                  // 000000005518: D3B14030 1802611C
	v_pk_mul_f32 v[50:51], v[28:29], v[50:51]                  // 000000005520: D3B14032 1802651C
	v_pk_mul_f32 v[52:53], v[28:29], v[52:53]                  // 000000005528: D3B14034 1802691C
	v_pk_mul_f32 v[54:55], v[28:29], v[54:55]                  // 000000005530: D3B14036 18026D1C
	v_pk_mul_f32 v[56:57], v[28:29], v[56:57]                  // 000000005538: D3B14038 1802711C
	v_pk_mul_f32 v[58:59], v[28:29], v[58:59]                  // 000000005540: D3B1403A 1802751C
	v_pk_mul_f32 v[60:61], v[28:29], v[60:61]                  // 000000005548: D3B1403C 1802791C
	v_pk_mul_f32 v[62:63], v[28:29], v[62:63]                  // 000000005550: D3B1403E 18027D1C
	v_pk_mul_f32 v[64:65], v[28:29], v[64:65]                  // 000000005558: D3B14040 1802811C
	v_pk_mul_f32 v[66:67], v[28:29], v[66:67]                  // 000000005560: D3B14042 1802851C
	v_pk_mul_f32 v[68:69], v[28:29], v[68:69]                  // 000000005568: D3B14044 1802891C
	v_pk_mul_f32 v[70:71], v[28:29], v[70:71]                  // 000000005570: D3B14046 18028D1C
	v_pk_mul_f32 v[72:73], v[28:29], v[72:73]                  // 000000005578: D3B14048 1802911C
	v_pk_mul_f32 v[74:75], v[28:29], v[74:75]                  // 000000005580: D3B1404A 1802951C
	v_pk_mul_f32 v[76:77], v[28:29], v[76:77]                  // 000000005588: D3B1404C 1802991C
	v_pk_mul_f32 v[78:79], v[28:29], v[78:79]                  // 000000005590: D3B1404E 18029D1C
	v_pk_mul_f32 v[80:81], v[28:29], v[80:81]                  // 000000005598: D3B14050 1802A11C
	v_pk_mul_f32 v[82:83], v[28:29], v[82:83]                  // 0000000055A0: D3B14052 1802A51C
	v_pk_mul_f32 v[84:85], v[28:29], v[84:85]                  // 0000000055A8: D3B14054 1802A91C
	v_pk_mul_f32 v[86:87], v[28:29], v[86:87]                  // 0000000055B0: D3B14056 1802AD1C
	v_pk_mul_f32 v[88:89], v[28:29], v[88:89]                  // 0000000055B8: D3B14058 1802B11C
	v_pk_mul_f32 v[90:91], v[28:29], v[90:91]                  // 0000000055C0: D3B1405A 1802B51C
	v_pk_mul_f32 v[92:93], v[28:29], v[92:93]                  // 0000000055C8: D3B1405C 1802B91C
	v_pk_mul_f32 v[94:95], v[28:29], v[94:95]                  // 0000000055D0: D3B1405E 1802BD1C
	v_pk_mul_f32 v[96:97], v[28:29], v[96:97]                  // 0000000055D8: D3B14060 1802C11C
	v_pk_mul_f32 v[98:99], v[28:29], v[98:99]                  // 0000000055E0: D3B14062 1802C51C
	v_pk_mul_f32 v[100:101], v[28:29], v[100:101]              // 0000000055E8: D3B14064 1802C91C
	v_pk_mul_f32 v[102:103], v[28:29], v[102:103]              // 0000000055F0: D3B14066 1802CD1C
	v_pk_mul_f32 v[104:105], v[28:29], v[104:105]              // 0000000055F8: D3B14068 1802D11C
	v_pk_mul_f32 v[106:107], v[28:29], v[106:107]              // 000000005600: D3B1406A 1802D51C
	v_pk_mul_f32 v[108:109], v[28:29], v[108:109]              // 000000005608: D3B1406C 1802D91C
	v_pk_mul_f32 v[110:111], v[28:29], v[110:111]              // 000000005610: D3B1406E 1802DD1C
	v_pk_mul_f32 v[112:113], v[28:29], v[112:113]              // 000000005618: D3B14070 1802E11C
	v_pk_mul_f32 v[114:115], v[28:29], v[114:115]              // 000000005620: D3B14072 1802E51C
	v_pk_mul_f32 v[116:117], v[28:29], v[116:117]              // 000000005628: D3B14074 1802E91C
	v_pk_mul_f32 v[118:119], v[28:29], v[118:119]              // 000000005630: D3B14076 1802ED1C
	v_pk_mul_f32 v[120:121], v[28:29], v[120:121]              // 000000005638: D3B14078 1802F11C
	v_pk_mul_f32 v[122:123], v[28:29], v[122:123]              // 000000005640: D3B1407A 1802F51C
	v_pk_mul_f32 v[124:125], v[28:29], v[124:125]              // 000000005648: D3B1407C 1802F91C
	v_pk_mul_f32 v[126:127], v[28:29], v[126:127]              // 000000005650: D3B1407E 1802FD1C
	v_pk_mul_f32 v[128:129], v[28:29], v[128:129]              // 000000005658: D3B14080 1803011C
	v_pk_mul_f32 v[130:131], v[28:29], v[130:131]              // 000000005660: D3B14082 1803051C
	v_pk_mul_f32 v[132:133], v[28:29], v[132:133]              // 000000005668: D3B14084 1803091C
	v_pk_mul_f32 v[134:135], v[28:29], v[134:135]              // 000000005670: D3B14086 18030D1C
	v_pk_mul_f32 v[136:137], v[28:29], v[136:137]              // 000000005678: D3B14088 1803111C
	v_pk_mul_f32 v[138:139], v[28:29], v[138:139]              // 000000005680: D3B1408A 1803151C
	v_pk_mul_f32 v[140:141], v[28:29], v[140:141]              // 000000005688: D3B1408C 1803191C
	v_pk_mul_f32 v[142:143], v[28:29], v[142:143]              // 000000005690: D3B1408E 18031D1C
	v_pk_mul_f32 v[144:145], v[28:29], v[144:145]              // 000000005698: D3B14090 1803211C
	v_pk_mul_f32 v[146:147], v[28:29], v[146:147]              // 0000000056A0: D3B14092 1803251C
	v_pk_mul_f32 v[148:149], v[28:29], v[148:149]              // 0000000056A8: D3B14094 1803291C
	v_pk_mul_f32 v[150:151], v[28:29], v[150:151]              // 0000000056B0: D3B14096 18032D1C
	v_pk_mul_f32 v[152:153], v[28:29], v[152:153]              // 0000000056B8: D3B14098 1803311C
	v_pk_mul_f32 v[154:155], v[28:29], v[154:155]              // 0000000056C0: D3B1409A 1803351C
	v_pk_mul_f32 v[156:157], v[28:29], v[156:157]              // 0000000056C8: D3B1409C 1803391C
	v_pk_mul_f32 v[158:159], v[28:29], v[158:159]              // 0000000056D0: D3B1409E 18033D1C
	v_pk_mul_f32 v[160:161], v[28:29], v[160:161]              // 0000000056D8: D3B140A0 1803411C
	v_pk_mul_f32 v[162:163], v[28:29], v[162:163]              // 0000000056E0: D3B140A2 1803451C
	v_pk_mul_f32 v[164:165], v[28:29], v[164:165]              // 0000000056E8: D3B140A4 1803491C
	v_pk_mul_f32 v[166:167], v[28:29], v[166:167]              // 0000000056F0: D3B140A6 18034D1C
	v_pk_mul_f32 v[168:169], v[28:29], v[168:169]              // 0000000056F8: D3B140A8 1803511C
	v_pk_mul_f32 v[170:171], v[28:29], v[170:171]              // 000000005700: D3B140AA 1803551C
	v_pk_mul_f32 v[172:173], v[28:29], v[172:173]              // 000000005708: D3B140AC 1803591C
	s_waitcnt lgkmcnt(0)                                       // 000000005710: BF8CC07F
	v_mfma_f32_16x16x16_bf16 v[46:49], a[144:145], v[38:39], v[46:49]// 000000005714: D3E1002E 0CBA4D90
	ds_write_b64 v182, v[206:207] offset:19072                 // 00000000571C: D89A4A80 0000CEB6
	v_mfma_f32_16x16x16_bf16 v[50:53], a[146:147], v[38:39], v[50:53]// 000000005724: D3E10032 0CCA4D92
	ds_read_b128 a[176:179], v9 offset:45312                   // 00000000572C: DBFEB100 B0000009
	ds_read_b128 a[180:183], v9 offset:46336                   // 000000005734: DBFEB500 B4000009
	v_mfma_f32_16x16x16_bf16 v[54:57], a[148:149], v[38:39], v[54:57]// 00000000573C: D3E10036 0CDA4D94
	ds_write_b64 v182, v[208:209] offset:19328                 // 000000005744: D89A4B80 0000D0B6
	v_mfma_f32_16x16x16_bf16 v[58:61], a[150:151], v[38:39], v[58:61]// 00000000574C: D3E1003A 0CEA4D96
	ds_write_b64 v182, v[210:211] offset:19584                 // 000000005754: D89A4C80 0000D2B6
	v_mfma_f32_16x16x16_bf16 v[62:65], a[152:153], v[38:39], v[62:65]// 00000000575C: D3E1003E 0CFA4D98
	ds_write_b64 v182, v[212:213] offset:19840                 // 000000005764: D89A4D80 0000D4B6
	v_mfma_f32_16x16x16_bf16 v[66:69], a[154:155], v[38:39], v[66:69]// 00000000576C: D3E10042 0D0A4D9A
	ds_read_b128 a[184:187], v9 offset:47360                   // 000000005774: DBFEB900 B8000009
	ds_read_b128 a[188:191], v9 offset:48384                   // 00000000577C: DBFEBD00 BC000009
	v_mfma_f32_16x16x16_bf16 v[70:73], a[156:157], v[38:39], v[70:73]// 000000005784: D3E10046 0D1A4D9C
	ds_write_b64 v182, v[214:215] offset:20096                 // 00000000578C: D89A4E80 0000D6B6
	v_mfma_f32_16x16x16_bf16 v[74:77], a[158:159], v[38:39], v[74:77]// 000000005794: D3E1004A 0D2A4D9E
	ds_write_b64 v182, v[216:217] offset:20352                 // 00000000579C: D89A4F80 0000D8B6
	v_mfma_f32_16x16x16_bf16 v[78:81], a[160:161], v[38:39], v[78:81]// 0000000057A4: D3E1004E 0D3A4DA0
	v_mfma_f32_16x16x16_bf16 v[82:85], a[162:163], v[38:39], v[82:85]// 0000000057AC: D3E10052 0D4A4DA2
	ds_read_b128 a[192:195], v9 offset:49408                   // 0000000057B4: DBFEC100 C0000009
	ds_read_b128 a[196:199], v9 offset:50432                   // 0000000057BC: DBFEC500 C4000009
	v_mfma_f32_16x16x16_bf16 v[86:89], a[164:165], v[38:39], v[86:89]// 0000000057C4: D3E10056 0D5A4DA4
	ds_write_b64 v182, v[218:219] offset:20608                 // 0000000057CC: D89A5080 0000DAB6
	v_mfma_f32_16x16x16_bf16 v[90:93], a[166:167], v[38:39], v[90:93]// 0000000057D4: D3E1005A 0D6A4DA6
	s_waitcnt lgkmcnt(4)                                       // 0000000057DC: BF8CC47F
	v_mfma_f32_16x16x16_bf16 v[94:97], a[168:169], v[38:39], v[94:97]// 0000000057E0: D3E1005E 0D7A4DA8
	v_mfma_f32_16x16x16_bf16 v[98:101], a[170:171], v[38:39], v[98:101]// 0000000057E8: D3E10062 0D8A4DAA
	ds_read_b128 a[200:203], v9 offset:51456                   // 0000000057F0: DBFEC900 C8000009
	ds_read_b128 a[204:207], v9 offset:52480                   // 0000000057F8: DBFECD00 CC000009
	v_mfma_f32_16x16x16_bf16 v[102:105], a[172:173], v[38:39], v[102:105]// 000000005800: D3E10066 0D9A4DAC
	v_mfma_f32_16x16x16_bf16 v[106:109], a[174:175], v[38:39], v[106:109]// 000000005808: D3E1006A 0DAA4DAE
	v_mfma_f32_16x16x16_bf16 v[110:113], a[176:177], v[38:39], v[110:113]// 000000005810: D3E1006E 0DBA4DB0
	v_mfma_f32_16x16x16_bf16 v[114:117], a[178:179], v[38:39], v[114:117]// 000000005818: D3E10072 0DCA4DB2
	v_mfma_f32_16x16x16_bf16 v[118:121], a[180:181], v[38:39], v[118:121]// 000000005820: D3E10076 0DDA4DB4
	s_waitcnt vmcnt(10) lgkmcnt(9)                             // 000000005828: BF8C097A
	s_barrier                                                  // 00000000582C: BF8A0000
	v_mfma_f32_16x16x16_bf16 v[122:125], a[182:183], v[38:39], v[122:125]// 000000005830: D3E1007A 0DEA4DB6
	v_mfma_f32_16x16x16_bf16 v[126:129], a[184:185], v[38:39], v[126:129]// 000000005838: D3E1007E 0DFA4DB8
	ds_read_b64 v[26:27], v7 offset:18560                      // 000000005840: D8EC4880 1A000007
	ds_read_b64 v[28:29], v7 offset:23200                      // 000000005848: D8EC5AA0 1C000007
	v_mfma_f32_16x16x16_bf16 v[130:133], a[186:187], v[38:39], v[130:133]// 000000005850: D3E10082 0E0A4DBA
	ds_read_b64 v[30:31], v7 offset:27840                      // 000000005858: D8EC6CC0 1E000007
	ds_read_b64 v[32:33], v7 offset:32480                      // 000000005860: D8EC7EE0 20000007
	v_mfma_f32_16x16x16_bf16 v[134:137], a[188:189], v[38:39], v[134:137]// 000000005868: D3E10086 0E1A4DBC
	ds_read_b128 a[144:147], v6 offset:18560                   // 000000005870: DBFE4880 90000006
	v_mfma_f32_16x16x16_bf16 v[138:141], a[190:191], v[38:39], v[138:141]// 000000005878: D3E1008A 0E2A4DBE
	ds_read_b128 a[148:151], v6 offset:18624                   // 000000005880: DBFE48C0 94000006
	v_mfma_f32_16x16x16_bf16 v[142:145], a[192:193], v[38:39], v[142:145]// 000000005888: D3E1008E 0E3A4DC0
	ds_read_b128 a[152:155], v6 offset:18816                   // 000000005890: DBFE4980 98000006
	v_mfma_f32_16x16x16_bf16 v[146:149], a[194:195], v[38:39], v[146:149]// 000000005898: D3E10092 0E4A4DC2
	ds_read_b128 a[156:159], v6 offset:18880                   // 0000000058A0: DBFE49C0 9C000006
	v_mfma_f32_16x16x16_bf16 v[150:153], a[196:197], v[38:39], v[150:153]// 0000000058A8: D3E10096 0E5A4DC4
	ds_read_b128 a[160:163], v6 offset:19072                   // 0000000058B0: DBFE4A80 A0000006
	v_mfma_f32_16x16x16_bf16 v[154:157], a[198:199], v[38:39], v[154:157]// 0000000058B8: D3E1009A 0E6A4DC6
	ds_read_b128 a[164:167], v6 offset:19136                   // 0000000058C0: DBFE4AC0 A4000006
	v_mfma_f32_16x16x16_bf16 v[158:161], a[200:201], v[38:39], v[158:161]// 0000000058C8: D3E1009E 0E7A4DC8
	ds_read_b128 a[168:171], v6 offset:19328                   // 0000000058D0: DBFE4B80 A8000006
	v_mfma_f32_16x16x16_bf16 v[162:165], a[202:203], v[38:39], v[162:165]// 0000000058D8: D3E100A2 0E8A4DCA
	ds_read_b128 a[172:175], v6 offset:19392                   // 0000000058E0: DBFE4BC0 AC000006
	v_mfma_f32_16x16x16_bf16 v[166:169], a[204:205], v[38:39], v[166:169]// 0000000058E8: D3E100A6 0E9A4DCC
	s_waitcnt lgkmcnt(8)                                       // 0000000058F0: BF8CC87F
	v_perm_b32 v174, v28, v26, s53                             // 0000000058F4: D1ED00AE 00D6351C
	v_perm_b32 v176, v28, v26, s52                             // 0000000058FC: D1ED00B0 00D2351C
	v_perm_b32 v175, v32, v30, s53                             // 000000005904: D1ED00AF 00D63D20
	v_perm_b32 v177, v32, v30, s52                             // 00000000590C: D1ED00B1 00D23D20
	v_mfma_f32_16x16x16_bf16 v[170:173], a[206:207], v[38:39], v[170:173]// 000000005914: D3E100AA 0EAA4DCE
	ds_write_b128 v8, v[174:177] offset:37120                  // 00000000591C: D9BE9100 0000AE08
	v_perm_b32 v174, v29, v27, s53                             // 000000005924: D1ED00AE 00D6371D
	v_perm_b32 v176, v29, v27, s52                             // 00000000592C: D1ED00B0 00D2371D
	v_perm_b32 v175, v33, v31, s53                             // 000000005934: D1ED00AF 00D63F21
	v_perm_b32 v177, v33, v31, s52                             // 00000000593C: D1ED00B1 00D23F21
	ds_write_b128 v8, v[174:177] offset:38144                  // 000000005944: D9BE9500 0000AE08
	ds_read_b64 v[26:27], v7 offset:19584                      // 00000000594C: D8EC4C80 1A000007
	ds_read_b64 v[28:29], v7 offset:24224                      // 000000005954: D8EC5EA0 1C000007
	ds_read_b64 v[30:31], v7 offset:28864                      // 00000000595C: D8EC70C0 1E000007
	ds_read_b64 v[32:33], v7 offset:33504                      // 000000005964: D8EC82E0 20000007
	s_nop 0                                                    // 00000000596C: BF800000
	s_addk_i32 s70, 0x1                                        // 000000005970: B7460001
	s_cmp_lt_i32 s70, s71                                      // 000000005974: BF044746
	s_cbranch_scc0 label_0AB5                                  // 000000005978: BF84FD16
	s_waitcnt lgkmcnt(4)                                       // 00000000597C: BF8CC47F
	s_waitcnt vmcnt(0)                                         // 000000005980: BF8C0F70
	v_mfma_f32_16x16x16_bf16 v[38:41], a[144:145], a[0:1], 0   // 000000005984: D3E10026 1A020190
	buffer_load_dword v13, v10, s[24:27], 0 offen              // 00000000598C: E0501000 80060D0A
	v_mfma_f32_16x16x16_bf16 v[38:41], a[146:147], a[2:3], v[38:41]// 000000005994: D3E10026 1C9A0592
	s_barrier                                                  // 00000000599C: BF8A0000
	ds_read_b128 a[176:179], v6 offset:19584                   // 0000000059A0: DBFE4C80 B0000006
	ds_read_b128 a[180:183], v6 offset:19648                   // 0000000059A8: DBFE4CC0 B4000006
	v_mfma_f32_16x16x16_bf16 v[38:41], a[148:149], a[4:5], v[38:41]// 0000000059B0: D3E10026 1C9A0994
	v_mov_b32_e32 v228, v192                                   // 0000000059B8: 7FC803C0
	v_cvt_pk_f32_fp8_sdwa v[228:229], v192 src0_sel:WORD_0     // 0000000059BC: 7FC8ACF9 000406C0
	v_cvt_pk_f32_fp8_sdwa v[230:231], v192 src0_sel:WORD_1     // 0000000059C4: 7FCCACF9 000506C0
	v_mul_f32_dpp v228, v232, v228 row_newbcast:0 row_mask:0xf bank_mask:0xf// 0000000059CC: 0BC9C8FA FF0150E8
	v_mul_f32_dpp v229, v232, v229 row_newbcast:0 row_mask:0xf bank_mask:0xf// 0000000059D4: 0BCBCAFA FF0150E8
	v_mul_f32_dpp v230, v232, v230 row_newbcast:0 row_mask:0xf bank_mask:0xf// 0000000059DC: 0BCDCCFA FF0150E8
	v_mul_f32_dpp v231, v232, v231 row_newbcast:0 row_mask:0xf bank_mask:0xf// 0000000059E4: 0BCFCEFA FF0150E8
	v_perm_b32 v184, v229, v228, s52                           // 0000000059EC: D1ED00B8 00D3C9E5
	v_perm_b32 v185, v231, v230, s52                           // 0000000059F4: D1ED00B9 00D3CDE7
	v_mfma_f32_16x16x16_bf16 v[38:41], a[150:151], a[6:7], v[38:41]// 0000000059FC: D3E10026 1C9A0D96
	v_mov_b32_e32 v228, v193                                   // 000000005A04: 7FC803C1
	v_cvt_pk_f32_fp8_sdwa v[228:229], v193 src0_sel:WORD_0     // 000000005A08: 7FC8ACF9 000406C1
	v_cvt_pk_f32_fp8_sdwa v[230:231], v193 src0_sel:WORD_1     // 000000005A10: 7FCCACF9 000506C1
	v_mul_f32_dpp v228, v232, v228 row_newbcast:0 row_mask:0xf bank_mask:0xf// 000000005A18: 0BC9C8FA FF0150E8
	v_mul_f32_dpp v229, v232, v229 row_newbcast:0 row_mask:0xf bank_mask:0xf// 000000005A20: 0BCBCAFA FF0150E8
	v_mul_f32_dpp v230, v232, v230 row_newbcast:0 row_mask:0xf bank_mask:0xf// 000000005A28: 0BCDCCFA FF0150E8
	v_mul_f32_dpp v231, v232, v231 row_newbcast:0 row_mask:0xf bank_mask:0xf// 000000005A30: 0BCFCEFA FF0150E8
	v_perm_b32 v186, v229, v228, s52                           // 000000005A38: D1ED00BA 00D3C9E5
	v_perm_b32 v187, v231, v230, s52                           // 000000005A40: D1ED00BB 00D3CDE7
	v_mfma_f32_16x16x16_bf16 v[38:41], a[152:153], a[8:9], v[38:41]// 000000005A48: D3E10026 1C9A1198
	v_mfma_f32_16x16x16_bf16 v[38:41], a[154:155], a[10:11], v[38:41]// 000000005A50: D3E10026 1C9A159A
	s_barrier                                                  // 000000005A58: BF8A0000
	ds_read_b128 a[184:187], v6 offset:19840                   // 000000005A5C: DBFE4D80 B8000006
	ds_read_b128 a[188:191], v6 offset:19904                   // 000000005A64: DBFE4DC0 BC000006
	v_mfma_f32_16x16x16_bf16 v[38:41], a[156:157], a[12:13], v[38:41]// 000000005A6C: D3E10026 1C9A199C
	v_mov_b32_e32 v228, v194                                   // 000000005A74: 7FC803C2
	v_cvt_pk_f32_fp8_sdwa v[228:229], v194 src0_sel:WORD_0     // 000000005A78: 7FC8ACF9 000406C2
	v_cvt_pk_f32_fp8_sdwa v[230:231], v194 src0_sel:WORD_1     // 000000005A80: 7FCCACF9 000506C2
	v_mul_f32_dpp v228, v232, v228 row_newbcast:1 row_mask:0xf bank_mask:0xf// 000000005A88: 0BC9C8FA FF0151E8
	v_mul_f32_dpp v229, v232, v229 row_newbcast:1 row_mask:0xf bank_mask:0xf// 000000005A90: 0BCBCAFA FF0151E8
	v_mul_f32_dpp v230, v232, v230 row_newbcast:1 row_mask:0xf bank_mask:0xf// 000000005A98: 0BCDCCFA FF0151E8
	v_mul_f32_dpp v231, v232, v231 row_newbcast:1 row_mask:0xf bank_mask:0xf// 000000005AA0: 0BCFCEFA FF0151E8
	v_perm_b32 v188, v229, v228, s52                           // 000000005AA8: D1ED00BC 00D3C9E5
	v_perm_b32 v189, v231, v230, s52                           // 000000005AB0: D1ED00BD 00D3CDE7
	v_mfma_f32_16x16x16_bf16 v[38:41], a[158:159], a[14:15], v[38:41]// 000000005AB8: D3E10026 1C9A1D9E
	s_waitcnt lgkmcnt(4)                                       // 000000005AC0: BF8CC47F
	v_mfma_f32_16x16x16_bf16 v[38:41], a[160:161], a[16:17], v[38:41]// 000000005AC4: D3E10026 1C9A21A0
	v_mfma_f32_16x16x16_bf16 v[38:41], a[162:163], a[18:19], v[38:41]// 000000005ACC: D3E10026 1C9A25A2
	s_barrier                                                  // 000000005AD4: BF8A0000
	ds_read_b128 a[192:195], v6 offset:20096                   // 000000005AD8: DBFE4E80 C0000006
	ds_read_b128 a[196:199], v6 offset:20160                   // 000000005AE0: DBFE4EC0 C4000006
	v_mfma_f32_16x16x16_bf16 v[38:41], a[164:165], a[20:21], v[38:41]// 000000005AE8: D3E10026 1C9A29A4
	v_mov_b32_e32 v228, v195                                   // 000000005AF0: 7FC803C3
	v_cvt_pk_f32_fp8_sdwa v[228:229], v195 src0_sel:WORD_0     // 000000005AF4: 7FC8ACF9 000406C3
	v_cvt_pk_f32_fp8_sdwa v[230:231], v195 src0_sel:WORD_1     // 000000005AFC: 7FCCACF9 000506C3
	v_mul_f32_dpp v228, v232, v228 row_newbcast:1 row_mask:0xf bank_mask:0xf// 000000005B04: 0BC9C8FA FF0151E8
	v_mul_f32_dpp v229, v232, v229 row_newbcast:1 row_mask:0xf bank_mask:0xf// 000000005B0C: 0BCBCAFA FF0151E8
	v_mul_f32_dpp v230, v232, v230 row_newbcast:1 row_mask:0xf bank_mask:0xf// 000000005B14: 0BCDCCFA FF0151E8
	v_mul_f32_dpp v231, v232, v231 row_newbcast:1 row_mask:0xf bank_mask:0xf// 000000005B1C: 0BCFCEFA FF0151E8
	v_perm_b32 v190, v229, v228, s52                           // 000000005B24: D1ED00BE 00D3C9E5
	v_perm_b32 v191, v231, v230, s52                           // 000000005B2C: D1ED00BF 00D3CDE7
	v_mfma_f32_16x16x16_bf16 v[38:41], a[166:167], a[22:23], v[38:41]// 000000005B34: D3E10026 1C9A2DA6
	v_mov_b32_e32 v228, v196                                   // 000000005B3C: 7FC803C4
	v_cvt_pk_f32_fp8_sdwa v[228:229], v196 src0_sel:WORD_0     // 000000005B40: 7FC8ACF9 000406C4
	v_cvt_pk_f32_fp8_sdwa v[230:231], v196 src0_sel:WORD_1     // 000000005B48: 7FCCACF9 000506C4
	v_mul_f32_dpp v228, v232, v228 row_newbcast:2 row_mask:0xf bank_mask:0xf// 000000005B50: 0BC9C8FA FF0152E8
	v_mul_f32_dpp v229, v232, v229 row_newbcast:2 row_mask:0xf bank_mask:0xf// 000000005B58: 0BCBCAFA FF0152E8
	v_mul_f32_dpp v230, v232, v230 row_newbcast:2 row_mask:0xf bank_mask:0xf// 000000005B60: 0BCDCCFA FF0152E8
	v_mul_f32_dpp v231, v232, v231 row_newbcast:2 row_mask:0xf bank_mask:0xf// 000000005B68: 0BCFCEFA FF0152E8
	v_perm_b32 v192, v229, v228, s52                           // 000000005B70: D1ED00C0 00D3C9E5
	v_perm_b32 v193, v231, v230, s52                           // 000000005B78: D1ED00C1 00D3CDE7
	v_mfma_f32_16x16x16_bf16 v[38:41], a[168:169], a[24:25], v[38:41]// 000000005B80: D3E10026 1C9A31A8
	v_mfma_f32_16x16x16_bf16 v[38:41], a[170:171], a[26:27], v[38:41]// 000000005B88: D3E10026 1C9A35AA
	s_barrier                                                  // 000000005B90: BF8A0000
	ds_read_b128 a[200:203], v6 offset:20352                   // 000000005B94: DBFE4F80 C8000006
	ds_read_b128 a[204:207], v6 offset:20416                   // 000000005B9C: DBFE4FC0 CC000006
	v_mfma_f32_16x16x16_bf16 v[38:41], a[172:173], a[28:29], v[38:41]// 000000005BA4: D3E10026 1C9A39AC
	v_mov_b32_e32 v228, v197                                   // 000000005BAC: 7FC803C5
	v_cvt_pk_f32_fp8_sdwa v[228:229], v197 src0_sel:WORD_0     // 000000005BB0: 7FC8ACF9 000406C5
	v_cvt_pk_f32_fp8_sdwa v[230:231], v197 src0_sel:WORD_1     // 000000005BB8: 7FCCACF9 000506C5
	v_mul_f32_dpp v228, v232, v228 row_newbcast:2 row_mask:0xf bank_mask:0xf// 000000005BC0: 0BC9C8FA FF0152E8
	v_mul_f32_dpp v229, v232, v229 row_newbcast:2 row_mask:0xf bank_mask:0xf// 000000005BC8: 0BCBCAFA FF0152E8
	v_mul_f32_dpp v230, v232, v230 row_newbcast:2 row_mask:0xf bank_mask:0xf// 000000005BD0: 0BCDCCFA FF0152E8
	v_mul_f32_dpp v231, v232, v231 row_newbcast:2 row_mask:0xf bank_mask:0xf// 000000005BD8: 0BCFCEFA FF0152E8
	v_perm_b32 v194, v229, v228, s52                           // 000000005BE0: D1ED00C2 00D3C9E5
	v_perm_b32 v195, v231, v230, s52                           // 000000005BE8: D1ED00C3 00D3CDE7
	v_mfma_f32_16x16x16_bf16 v[38:41], a[174:175], a[30:31], v[38:41]// 000000005BF0: D3E10026 1C9A3DAE
	s_waitcnt lgkmcnt(4)                                       // 000000005BF8: BF8CC47F
	s_barrier                                                  // 000000005BFC: BF8A0000
	v_mfma_f32_16x16x16_bf16 v[38:41], a[176:177], a[32:33], v[38:41]// 000000005C00: D3E10026 1C9A41B0
	buffer_load_dword v210, v22, s[20:23], 0 offen             // 000000005C08: E0501000 8005D216
	v_mfma_f32_16x16x16_bf16 v[38:41], a[178:179], a[34:35], v[38:41]// 000000005C10: D3E10026 1C9A45B2
	s_barrier                                                  // 000000005C18: BF8A0000
	ds_read_b128 a[208:211], v6 offset:20608                   // 000000005C1C: DBFE5080 D0000006
	ds_read_b128 a[212:215], v6 offset:20672                   // 000000005C24: DBFE50C0 D4000006
	v_mov_b32_e32 v228, v198                                   // 000000005C2C: 7FC803C6
	v_cvt_pk_f32_fp8_sdwa v[228:229], v198 src0_sel:WORD_0     // 000000005C30: 7FC8ACF9 000406C6
	v_cvt_pk_f32_fp8_sdwa v[230:231], v198 src0_sel:WORD_1     // 000000005C38: 7FCCACF9 000506C6
	v_mul_f32_dpp v228, v232, v228 row_newbcast:3 row_mask:0xf bank_mask:0xf// 000000005C40: 0BC9C8FA FF0153E8
	v_mul_f32_dpp v229, v232, v229 row_newbcast:3 row_mask:0xf bank_mask:0xf// 000000005C48: 0BCBCAFA FF0153E8
	v_mul_f32_dpp v230, v232, v230 row_newbcast:3 row_mask:0xf bank_mask:0xf// 000000005C50: 0BCDCCFA FF0153E8
	v_mul_f32_dpp v231, v232, v231 row_newbcast:3 row_mask:0xf bank_mask:0xf// 000000005C58: 0BCFCEFA FF0153E8
	v_perm_b32 v196, v229, v228, s52                           // 000000005C60: D1ED00C4 00D3C9E5
	v_perm_b32 v197, v231, v230, s52                           // 000000005C68: D1ED00C5 00D3CDE7
	v_mfma_f32_16x16x16_bf16 v[38:41], a[180:181], a[36:37], v[38:41]// 000000005C70: D3E10026 1C9A49B4
	buffer_load_dword v211, v22, s[20:23], 0 offen offset:64   // 000000005C78: E0501040 8005D316
	v_mfma_f32_16x16x16_bf16 v[38:41], a[182:183], a[38:39], v[38:41]// 000000005C80: D3E10026 1C9A4DB6
	v_perm_b32 v174, v28, v26, s53                             // 000000005C88: D1ED00AE 00D6351C
	v_perm_b32 v176, v28, v26, s52                             // 000000005C90: D1ED00B0 00D2351C
	v_perm_b32 v175, v32, v30, s53                             // 000000005C98: D1ED00AF 00D63D20
	v_perm_b32 v177, v32, v30, s52                             // 000000005CA0: D1ED00B1 00D23D20
	v_mfma_f32_16x16x16_bf16 v[38:41], a[184:185], a[40:41], v[38:41]// 000000005CA8: D3E10026 1C9A51B8
	buffer_load_dword v212, v22, s[20:23], 0 offen offset:128  // 000000005CB0: E0501080 8005D416
	v_mfma_f32_16x16x16_bf16 v[38:41], a[186:187], a[42:43], v[38:41]// 000000005CB8: D3E10026 1C9A55BA
	s_barrier                                                  // 000000005CC0: BF8A0000
	ds_write_b128 v8, v[174:177] offset:45312                  // 000000005CC4: D9BEB100 0000AE08
	v_mfma_f32_16x16x16_bf16 v[38:41], a[188:189], a[44:45], v[38:41]// 000000005CCC: D3E10026 1C9A59BC
	buffer_load_dword v213, v22, s[20:23], 0 offen offset:192  // 000000005CD4: E05010C0 8005D516
	v_mfma_f32_16x16x16_bf16 v[38:41], a[190:191], a[46:47], v[38:41]// 000000005CDC: D3E10026 1C9A5DBE
	v_perm_b32 v174, v29, v27, s53                             // 000000005CE4: D1ED00AE 00D6371D
	v_perm_b32 v176, v29, v27, s52                             // 000000005CEC: D1ED00B0 00D2371D
	v_perm_b32 v175, v33, v31, s53                             // 000000005CF4: D1ED00AF 00D63F21
	v_perm_b32 v177, v33, v31, s52                             // 000000005CFC: D1ED00B1 00D23F21
	s_waitcnt lgkmcnt(1)                                       // 000000005D04: BF8CC17F
	s_barrier                                                  // 000000005D08: BF8A0000
	v_mfma_f32_16x16x16_bf16 v[38:41], a[192:193], a[48:49], v[38:41]// 000000005D0C: D3E10026 1C9A61C0
	buffer_load_dword v214, v22, s[20:23], 0 offen offset:256  // 000000005D14: E0501100 8005D616
	v_mfma_f32_16x16x16_bf16 v[38:41], a[194:195], a[50:51], v[38:41]// 000000005D1C: D3E10026 1C9A65C2
	s_barrier                                                  // 000000005D24: BF8A0000
	ds_write_b128 v8, v[174:177] offset:46336                  // 000000005D28: D9BEB500 0000AE08
	v_mfma_f32_16x16x16_bf16 v[38:41], a[196:197], a[52:53], v[38:41]// 000000005D30: D3E10026 1C9A69C4
	v_mov_b32_e32 v228, v199                                   // 000000005D38: 7FC803C7
	v_cvt_pk_f32_fp8_sdwa v[228:229], v199 src0_sel:WORD_0     // 000000005D3C: 7FC8ACF9 000406C7
	v_cvt_pk_f32_fp8_sdwa v[230:231], v199 src0_sel:WORD_1     // 000000005D44: 7FCCACF9 000506C7
	v_mul_f32_dpp v228, v232, v228 row_newbcast:3 row_mask:0xf bank_mask:0xf// 000000005D4C: 0BC9C8FA FF0153E8
	v_mul_f32_dpp v229, v232, v229 row_newbcast:3 row_mask:0xf bank_mask:0xf// 000000005D54: 0BCBCAFA FF0153E8
	v_mul_f32_dpp v230, v232, v230 row_newbcast:3 row_mask:0xf bank_mask:0xf// 000000005D5C: 0BCDCCFA FF0153E8
	v_mul_f32_dpp v231, v232, v231 row_newbcast:3 row_mask:0xf bank_mask:0xf// 000000005D64: 0BCFCEFA FF0153E8
	v_perm_b32 v198, v229, v228, s52                           // 000000005D6C: D1ED00C6 00D3C9E5
	v_perm_b32 v199, v231, v230, s52                           // 000000005D74: D1ED00C7 00D3CDE7
	buffer_load_dword v215, v22, s[20:23], 0 offen offset:320  // 000000005D7C: E0501140 8005D716
	v_mfma_f32_16x16x16_bf16 v[38:41], a[198:199], a[54:55], v[38:41]// 000000005D84: D3E10026 1C9A6DC6
	v_mfma_f32_16x16x16_bf16 v[38:41], a[200:201], a[56:57], v[38:41]// 000000005D8C: D3E10026 1C9A71C8
	buffer_load_dword v216, v22, s[20:23], 0 offen offset:384  // 000000005D94: E0501180 8005D816
	v_mfma_f32_16x16x16_bf16 v[38:41], a[202:203], a[58:59], v[38:41]// 000000005D9C: D3E10026 1C9A75CA
	s_barrier                                                  // 000000005DA4: BF8A0000
	v_mfma_f32_16x16x16_bf16 v[38:41], a[204:205], a[60:61], v[38:41]// 000000005DA8: D3E10026 1C9A79CC
	buffer_load_dword v217, v22, s[20:23], 0 offen offset:448  // 000000005DB0: E05011C0 8005D916
	v_mfma_f32_16x16x16_bf16 v[38:41], a[206:207], a[62:63], v[38:41]// 000000005DB8: D3E10026 1C9A7DCE
	v_mfma_f32_16x16x16_bf16 v[38:41], a[208:209], a[64:65], v[38:41]// 000000005DC0: D3E10026 1C9A81D0
	buffer_load_dwordx2 v[218:219], v23, s[20:23], 0 offen     // 000000005DC8: E0541000 8005DA17
	v_mfma_f32_16x16x16_bf16 v[38:41], a[210:211], a[66:67], v[38:41]// 000000005DD0: D3E10026 1C9A85D2
	s_barrier                                                  // 000000005DD8: BF8A0000
	v_mfma_f32_16x16x16_bf16 v[38:41], a[212:213], a[68:69], v[38:41]// 000000005DDC: D3E10026 1C9A89D4
	buffer_load_dword v233, v24, s[20:23], 0 offen             // 000000005DE4: E0501000 8005E918
	v_mfma_f32_16x16x16_bf16 v[38:41], a[214:215], a[70:71], v[38:41]// 000000005DEC: D3E10026 1C9A8DD6
	s_cmp_eq_i32 s98, 0                                        // 000000005DF4: BF008062
	s_cbranch_scc0 label_0EC0                                  // 000000005DF8: BF840001
	v_add_u32_e32 v10, s73, v10                                // 000000005DFC: 68141449

0000000000005e00 <label_0EC0>:
	s_add_u32 s98, 1, s98                                      // 000000005E00: 80626281
	s_and_b32 s98, 3, s98                                      // 000000005E04: 86626283
	s_cmp_le_i32 s83, s82                                      // 000000005E08: BF055253
	s_cbranch_scc1 label_0EE8                                  // 000000005E0C: BF850024
	v_mov_b32_e32 v31, 0xff800000                              // 000000005E10: 7E3E02FF FF800000
	s_add_u32 s57, s82, 0                                      // 000000005E18: 80398052
	v_mov_b32_e32 v30, s57                                     // 000000005E1C: 7E3C0239
	v_add_u32_e32 v30, s7, v30                                 // 000000005E20: 683C3C07
	s_sub_u32 s56, s83, 15                                     // 000000005E24: 80B88F53
	v_lshrrev_b32_e32 v26, 4, v0                               // 000000005E28: 20340084
	v_mul_i32_i24_e32 v26, 4, v26                              // 000000005E2C: 0C343484
	v_add_u32_e32 v26, s56, v26                                // 000000005E30: 68343438
	v_add_u32_e32 v27, 1, v26                                  // 000000005E34: 68363481
	v_add_u32_e32 v28, 2, v26                                  // 000000005E38: 68383482
	v_add_u32_e32 v29, 3, v26                                  // 000000005E3C: 683A3483
	v_cmp_le_u32_e64 s[38:39], v26, v30                        // 000000005E40: D0CB0026 00023D1A
	v_add_u32_e32 v26, 64, v26                                 // 000000005E48: 683434C0
	s_nop 0                                                    // 000000005E4C: BF800000
	v_cndmask_b32_e64 v38, v31, v38, s[38:39]                  // 000000005E50: D1000026 009A4D1F
	v_cmp_le_u32_e64 s[38:39], v27, v30                        // 000000005E58: D0CB0026 00023D1B
	v_add_u32_e32 v27, 64, v27                                 // 000000005E60: 683636C0
	s_nop 0                                                    // 000000005E64: BF800000
	v_cndmask_b32_e64 v39, v31, v39, s[38:39]                  // 000000005E68: D1000027 009A4F1F
	v_cmp_le_u32_e64 s[38:39], v28, v30                        // 000000005E70: D0CB0026 00023D1C
	v_add_u32_e32 v28, 64, v28                                 // 000000005E78: 683838C0
	s_nop 0                                                    // 000000005E7C: BF800000
	v_cndmask_b32_e64 v40, v31, v40, s[38:39]                  // 000000005E80: D1000028 009A511F
	v_cmp_le_u32_e64 s[38:39], v29, v30                        // 000000005E88: D0CB0026 00023D1D
	v_add_u32_e32 v29, 64, v29                                 // 000000005E90: 683A3AC0
	s_nop 0                                                    // 000000005E94: BF800000
	v_cndmask_b32_e64 v41, v31, v41, s[38:39]                  // 000000005E98: D1000029 009A531F

0000000000005ea0 <label_0EE8>:
	s_waitcnt lgkmcnt(0)                                       // 000000005EA0: BF8CC07F
	s_barrier                                                  // 000000005EA4: BF8A0000
	v_max3_f32 v30, v38, v39, v38                              // 000000005EA8: D1D3001E 049A4F26
	v_max3_f32 v30, v40, v41, v30                              // 000000005EB0: D1D3001E 047A5328
	ds_write_b32 v5, v30 offset:53504                          // 000000005EB8: D81AD100 00001E05
	s_waitcnt lgkmcnt(0)                                       // 000000005EC0: BF8CC07F
	ds_read_b32 v26, v4 offset:53504                           // 000000005EC4: D86CD100 1A000004
	ds_read_b32 v27, v4 offset:53568                           // 000000005ECC: D86CD140 1B000004
	ds_read_b32 v28, v4 offset:53632                           // 000000005ED4: D86CD180 1C000004
	ds_read_b32 v29, v4 offset:53696                           // 000000005EDC: D86CD1C0 1D000004
	s_waitcnt lgkmcnt(0)                                       // 000000005EE4: BF8CC07F
	v_max3_f32 v30, v26, v27, v30                              // 000000005EE8: D1D3001E 047A371A
	v_max3_f32 v30, v28, v29, v30                              // 000000005EF0: D1D3001E 047A3B1C
	ds_write_b64 v182, v[184:185]                              // 000000005EF8: D89A0000 0000B8B6
	ds_read_b128 a[144:147], v9 offset:37120                   // 000000005F00: DBFE9100 90000009
	ds_read_b128 a[148:151], v9 offset:38144                   // 000000005F08: DBFE9500 94000009
	ds_write_b64 v182, v[186:187] offset:256                   // 000000005F10: D89A0100 0000BAB6
	ds_read_b128 a[152:155], v9 offset:39168                   // 000000005F18: DBFE9900 98000009
	ds_read_b128 a[156:159], v9 offset:40192                   // 000000005F20: DBFE9D00 9C000009
	ds_write_b64 v182, v[188:189] offset:512                   // 000000005F28: D89A0200 0000BCB6
	ds_read_b128 a[160:163], v9 offset:41216                   // 000000005F30: DBFEA100 A0000009
	ds_read_b128 a[164:167], v9 offset:42240                   // 000000005F38: DBFEA500 A4000009
	ds_write_b64 v182, v[190:191] offset:768                   // 000000005F40: D89A0300 0000BEB6
	ds_read_b128 a[168:171], v9 offset:43264                   // 000000005F48: DBFEA900 A8000009
	ds_read_b128 a[172:175], v9 offset:44288                   // 000000005F50: DBFEAD00 AC000009
	v_mov_b32_e32 v31, 0xff7fffff                              // 000000005F58: 7E3E02FF FF7FFFFF
	v_cmp_eq_u32_e64 s[38:39], v31, v16                        // 000000005F60: D0CA0026 0002211F
	v_max_f32_e32 v26, v30, v16                                // 000000005F68: 1634211E
	v_sub_f32_e32 v20, v16, v26                                // 000000005F6C: 04283510
	v_cndmask_b32_e64 v20, v20, 0, s[38:39]                    // 000000005F70: D1000014 00990114
	v_mov_b32_e32 v16, v26                                     // 000000005F78: 7E20031A
	v_mul_f32_e32 v27, s5, v26                                 // 000000005F7C: 0A363405
	v_mul_f32_e32 v20, s5, v20                                 // 000000005F80: 0A282805
	v_exp_f32_e32 v20, v20                                     // 000000005F84: 7E284114
	v_fma_f32 v38, v38, s5, -v27                               // 000000005F88: D1CB0026 846C0B26
	v_fma_f32 v39, v39, s5, -v27                               // 000000005F90: D1CB0027 846C0B27
	v_fma_f32 v40, v40, s5, -v27                               // 000000005F98: D1CB0028 846C0B28
	v_fma_f32 v41, v41, s5, -v27                               // 000000005FA0: D1CB0029 846C0B29
	v_exp_f32_e32 v38, v38                                     // 000000005FA8: 7E4C4126
	v_exp_f32_e32 v39, v39                                     // 000000005FAC: 7E4E4127
	v_exp_f32_e32 v40, v40                                     // 000000005FB0: 7E504128
	v_exp_f32_e32 v41, v41                                     // 000000005FB4: 7E524129
	v_mul_f32_e32 v18, v20, v18                                // 000000005FB8: 0A242514
	v_mov_b32_e32 v28, v38                                     // 000000005FBC: 7E380326
	v_add_f32_e32 v28, v39, v28                                // 000000005FC0: 02383927
	v_add_f32_e32 v28, v40, v28                                // 000000005FC4: 02383928
	v_add_f32_e32 v28, v41, v28                                // 000000005FC8: 02383929
	v_add_f32_e32 v18, v28, v18                                // 000000005FCC: 0224251C
	v_mov_b32_e32 v35, 0xffff0000                              // 000000005FD0: 7E4602FF FFFF0000
	v_mov_b32_e32 v36, 0x7fff0000                              // 000000005FD8: 7E4802FF 7FFF0000
	v_mov_b32_e32 v37, 0x7fff                                  // 000000005FE0: 7E4A02FF 00007FFF
	v_cmp_u_f32_e64 s[38:39], v38, v38                         // 000000005FE8: D0480026 00024D26
	v_add3_u32 v34, v38, v37, 1                                // 000000005FF0: D1FF0022 02064B26
	v_cndmask_b32_e64 v26, v34, v36, s[38:39]                  // 000000005FF8: D100001A 009A4922
	v_cmp_u_f32_e64 s[38:39], v39, v39                         // 000000006000: D0480026 00024F27
	v_add3_u32 v34, v39, v37, 1                                // 000000006008: D1FF0022 02064B27
	v_cndmask_b32_e64 v27, v34, v36, s[38:39]                  // 000000006010: D100001B 009A4922
	v_perm_b32 v38, v27, v26, s52                              // 000000006018: D1ED0026 00D2351B
	v_cmp_u_f32_e64 s[38:39], v40, v40                         // 000000006020: D0480026 00025128
	v_add3_u32 v34, v40, v37, 1                                // 000000006028: D1FF0022 02064B28
	v_cndmask_b32_e64 v26, v34, v36, s[38:39]                  // 000000006030: D100001A 009A4922
	v_cmp_u_f32_e64 s[38:39], v41, v41                         // 000000006038: D0480026 00025329
	v_add3_u32 v34, v41, v37, 1                                // 000000006040: D1FF0022 02064B29
	v_cndmask_b32_e64 v27, v34, v36, s[38:39]                  // 000000006048: D100001B 009A4922
	v_perm_b32 v39, v27, v26, s52                              // 000000006050: D1ED0027 00D2351B
	s_nop 2                                                    // 000000006058: BF800002
	s_add_u32 s83, s84, s83                                    // 00000000605C: 80535354
	s_nop 0                                                    // 000000006060: BF800000
	v_mul_u32_u24_e32 v26, v12, v14                            // 000000006064: 10341D0C
	v_add_u32_e32 v22, v26, v1                                 // 000000006068: 682C031A
	v_add_u32_e32 v23, v26, v2                                 // 00000000606C: 682E051A
	v_add_u32_e32 v24, v26, v3                                 // 000000006070: 6830071A
	v_lshlrev_b32_e64 v26, 13, s97                             // 000000006074: D112001A 0000C28D
	v_add_u32_e32 v22, v26, v22                                // 00000000607C: 682C2D1A
	v_lshlrev_b32_e64 v26, 11, s97                             // 000000006080: D112001A 0000C28B
	v_add_u32_e32 v23, v26, v23                                // 000000006088: 682E2F1A
	v_lshlrev_b32_e64 v26, 8, s97                              // 00000000608C: D112001A 0000C288
	v_add_u32_e32 v24, v26, v24                                // 000000006094: 6830311A
	s_add_u32 s97, 1, s97                                      // 000000006098: 80616181
	s_and_b32 s97, 3, s97                                      // 00000000609C: 86616183
	s_mov_b32 m0, s35                                          // 0000000060A0: BEFC0023
	v_mov_b32_e32 v28, v20                                     // 0000000060A4: 7E380314
	v_mov_b32_e32 v29, v20                                     // 0000000060A8: 7E3A0314
	v_pk_mul_f32 v[46:47], v[28:29], v[46:47]                  // 0000000060AC: D3B1402E 18025D1C
	v_pk_mul_f32 v[48:49], v[28:29], v[48:49]                  // 0000000060B4: D3B14030 1802611C
	v_pk_mul_f32 v[50:51], v[28:29], v[50:51]                  // 0000000060BC: D3B14032 1802651C
	v_pk_mul_f32 v[52:53], v[28:29], v[52:53]                  // 0000000060C4: D3B14034 1802691C
	v_pk_mul_f32 v[54:55], v[28:29], v[54:55]                  // 0000000060CC: D3B14036 18026D1C
	v_pk_mul_f32 v[56:57], v[28:29], v[56:57]                  // 0000000060D4: D3B14038 1802711C
	v_pk_mul_f32 v[58:59], v[28:29], v[58:59]                  // 0000000060DC: D3B1403A 1802751C
	v_pk_mul_f32 v[60:61], v[28:29], v[60:61]                  // 0000000060E4: D3B1403C 1802791C
	v_pk_mul_f32 v[62:63], v[28:29], v[62:63]                  // 0000000060EC: D3B1403E 18027D1C
	v_pk_mul_f32 v[64:65], v[28:29], v[64:65]                  // 0000000060F4: D3B14040 1802811C
	v_pk_mul_f32 v[66:67], v[28:29], v[66:67]                  // 0000000060FC: D3B14042 1802851C
	v_pk_mul_f32 v[68:69], v[28:29], v[68:69]                  // 000000006104: D3B14044 1802891C
	v_pk_mul_f32 v[70:71], v[28:29], v[70:71]                  // 00000000610C: D3B14046 18028D1C
	v_pk_mul_f32 v[72:73], v[28:29], v[72:73]                  // 000000006114: D3B14048 1802911C
	v_pk_mul_f32 v[74:75], v[28:29], v[74:75]                  // 00000000611C: D3B1404A 1802951C
	v_pk_mul_f32 v[76:77], v[28:29], v[76:77]                  // 000000006124: D3B1404C 1802991C
	v_pk_mul_f32 v[78:79], v[28:29], v[78:79]                  // 00000000612C: D3B1404E 18029D1C
	v_pk_mul_f32 v[80:81], v[28:29], v[80:81]                  // 000000006134: D3B14050 1802A11C
	v_pk_mul_f32 v[82:83], v[28:29], v[82:83]                  // 00000000613C: D3B14052 1802A51C
	v_pk_mul_f32 v[84:85], v[28:29], v[84:85]                  // 000000006144: D3B14054 1802A91C
	v_pk_mul_f32 v[86:87], v[28:29], v[86:87]                  // 00000000614C: D3B14056 1802AD1C
	v_pk_mul_f32 v[88:89], v[28:29], v[88:89]                  // 000000006154: D3B14058 1802B11C
	v_pk_mul_f32 v[90:91], v[28:29], v[90:91]                  // 00000000615C: D3B1405A 1802B51C
	v_pk_mul_f32 v[92:93], v[28:29], v[92:93]                  // 000000006164: D3B1405C 1802B91C
	v_pk_mul_f32 v[94:95], v[28:29], v[94:95]                  // 00000000616C: D3B1405E 1802BD1C
	v_pk_mul_f32 v[96:97], v[28:29], v[96:97]                  // 000000006174: D3B14060 1802C11C
	v_pk_mul_f32 v[98:99], v[28:29], v[98:99]                  // 00000000617C: D3B14062 1802C51C
	v_pk_mul_f32 v[100:101], v[28:29], v[100:101]              // 000000006184: D3B14064 1802C91C
	v_pk_mul_f32 v[102:103], v[28:29], v[102:103]              // 00000000618C: D3B14066 1802CD1C
	v_pk_mul_f32 v[104:105], v[28:29], v[104:105]              // 000000006194: D3B14068 1802D11C
	v_pk_mul_f32 v[106:107], v[28:29], v[106:107]              // 00000000619C: D3B1406A 1802D51C
	v_pk_mul_f32 v[108:109], v[28:29], v[108:109]              // 0000000061A4: D3B1406C 1802D91C
	v_pk_mul_f32 v[110:111], v[28:29], v[110:111]              // 0000000061AC: D3B1406E 1802DD1C
	v_pk_mul_f32 v[112:113], v[28:29], v[112:113]              // 0000000061B4: D3B14070 1802E11C
	v_pk_mul_f32 v[114:115], v[28:29], v[114:115]              // 0000000061BC: D3B14072 1802E51C
	v_pk_mul_f32 v[116:117], v[28:29], v[116:117]              // 0000000061C4: D3B14074 1802E91C
	v_pk_mul_f32 v[118:119], v[28:29], v[118:119]              // 0000000061CC: D3B14076 1802ED1C
	v_pk_mul_f32 v[120:121], v[28:29], v[120:121]              // 0000000061D4: D3B14078 1802F11C
	v_pk_mul_f32 v[122:123], v[28:29], v[122:123]              // 0000000061DC: D3B1407A 1802F51C
	v_pk_mul_f32 v[124:125], v[28:29], v[124:125]              // 0000000061E4: D3B1407C 1802F91C
	v_pk_mul_f32 v[126:127], v[28:29], v[126:127]              // 0000000061EC: D3B1407E 1802FD1C
	v_pk_mul_f32 v[128:129], v[28:29], v[128:129]              // 0000000061F4: D3B14080 1803011C
	v_pk_mul_f32 v[130:131], v[28:29], v[130:131]              // 0000000061FC: D3B14082 1803051C
	v_pk_mul_f32 v[132:133], v[28:29], v[132:133]              // 000000006204: D3B14084 1803091C
	v_pk_mul_f32 v[134:135], v[28:29], v[134:135]              // 00000000620C: D3B14086 18030D1C
	v_pk_mul_f32 v[136:137], v[28:29], v[136:137]              // 000000006214: D3B14088 1803111C
	v_pk_mul_f32 v[138:139], v[28:29], v[138:139]              // 00000000621C: D3B1408A 1803151C
	v_pk_mul_f32 v[140:141], v[28:29], v[140:141]              // 000000006224: D3B1408C 1803191C
	v_pk_mul_f32 v[142:143], v[28:29], v[142:143]              // 00000000622C: D3B1408E 18031D1C
	v_pk_mul_f32 v[144:145], v[28:29], v[144:145]              // 000000006234: D3B14090 1803211C
	v_pk_mul_f32 v[146:147], v[28:29], v[146:147]              // 00000000623C: D3B14092 1803251C
	v_pk_mul_f32 v[148:149], v[28:29], v[148:149]              // 000000006244: D3B14094 1803291C
	v_pk_mul_f32 v[150:151], v[28:29], v[150:151]              // 00000000624C: D3B14096 18032D1C
	v_pk_mul_f32 v[152:153], v[28:29], v[152:153]              // 000000006254: D3B14098 1803311C
	v_pk_mul_f32 v[154:155], v[28:29], v[154:155]              // 00000000625C: D3B1409A 1803351C
	v_pk_mul_f32 v[156:157], v[28:29], v[156:157]              // 000000006264: D3B1409C 1803391C
	v_pk_mul_f32 v[158:159], v[28:29], v[158:159]              // 00000000626C: D3B1409E 18033D1C
	v_pk_mul_f32 v[160:161], v[28:29], v[160:161]              // 000000006274: D3B140A0 1803411C
	v_pk_mul_f32 v[162:163], v[28:29], v[162:163]              // 00000000627C: D3B140A2 1803451C
	v_pk_mul_f32 v[164:165], v[28:29], v[164:165]              // 000000006284: D3B140A4 1803491C
	v_pk_mul_f32 v[166:167], v[28:29], v[166:167]              // 00000000628C: D3B140A6 18034D1C
	v_pk_mul_f32 v[168:169], v[28:29], v[168:169]              // 000000006294: D3B140A8 1803511C
	v_pk_mul_f32 v[170:171], v[28:29], v[170:171]              // 00000000629C: D3B140AA 1803551C
	v_pk_mul_f32 v[172:173], v[28:29], v[172:173]              // 0000000062A4: D3B140AC 1803591C
	s_waitcnt lgkmcnt(0)                                       // 0000000062AC: BF8CC07F
	v_mfma_f32_16x16x16_bf16 v[46:49], a[144:145], v[38:39], v[46:49]// 0000000062B0: D3E1002E 0CBA4D90
	ds_write_b64 v182, v[188:189] offset:512                   // 0000000062B8: D89A0200 0000BCB6
	v_mfma_f32_16x16x16_bf16 v[50:53], a[146:147], v[38:39], v[50:53]// 0000000062C0: D3E10032 0CCA4D92
	ds_read_b128 a[176:179], v9 offset:45312                   // 0000000062C8: DBFEB100 B0000009
	ds_read_b128 a[180:183], v9 offset:46336                   // 0000000062D0: DBFEB500 B4000009
	v_mfma_f32_16x16x16_bf16 v[54:57], a[148:149], v[38:39], v[54:57]// 0000000062D8: D3E10036 0CDA4D94
	ds_write_b64 v182, v[190:191] offset:768                   // 0000000062E0: D89A0300 0000BEB6
	v_mfma_f32_16x16x16_bf16 v[58:61], a[150:151], v[38:39], v[58:61]// 0000000062E8: D3E1003A 0CEA4D96
	ds_write_b64 v182, v[192:193] offset:1024                  // 0000000062F0: D89A0400 0000C0B6
	v_mfma_f32_16x16x16_bf16 v[62:65], a[152:153], v[38:39], v[62:65]// 0000000062F8: D3E1003E 0CFA4D98
	ds_write_b64 v182, v[194:195] offset:1280                  // 000000006300: D89A0500 0000C2B6
	v_mfma_f32_16x16x16_bf16 v[66:69], a[154:155], v[38:39], v[66:69]// 000000006308: D3E10042 0D0A4D9A
	ds_read_b128 a[184:187], v9 offset:47360                   // 000000006310: DBFEB900 B8000009
	ds_read_b128 a[188:191], v9 offset:48384                   // 000000006318: DBFEBD00 BC000009
	v_mfma_f32_16x16x16_bf16 v[70:73], a[156:157], v[38:39], v[70:73]// 000000006320: D3E10046 0D1A4D9C
	ds_write_b64 v182, v[196:197] offset:1536                  // 000000006328: D89A0600 0000C4B6
	v_mfma_f32_16x16x16_bf16 v[74:77], a[158:159], v[38:39], v[74:77]// 000000006330: D3E1004A 0D2A4D9E
	ds_write_b64 v182, v[198:199] offset:1792                  // 000000006338: D89A0700 0000C6B6
	v_mfma_f32_16x16x16_bf16 v[78:81], a[160:161], v[38:39], v[78:81]// 000000006340: D3E1004E 0D3A4DA0
	v_mfma_f32_16x16x16_bf16 v[82:85], a[162:163], v[38:39], v[82:85]// 000000006348: D3E10052 0D4A4DA2
	ds_read_b128 a[192:195], v9 offset:49408                   // 000000006350: DBFEC100 C0000009
	ds_read_b128 a[196:199], v9 offset:50432                   // 000000006358: DBFEC500 C4000009
	v_mfma_f32_16x16x16_bf16 v[86:89], a[164:165], v[38:39], v[86:89]// 000000006360: D3E10056 0D5A4DA4
	ds_write_b64 v182, v[200:201] offset:2048                  // 000000006368: D89A0800 0000C8B6
	v_mfma_f32_16x16x16_bf16 v[90:93], a[166:167], v[38:39], v[90:93]// 000000006370: D3E1005A 0D6A4DA6
	s_waitcnt lgkmcnt(4)                                       // 000000006378: BF8CC47F
	v_mfma_f32_16x16x16_bf16 v[94:97], a[168:169], v[38:39], v[94:97]// 00000000637C: D3E1005E 0D7A4DA8
	v_mfma_f32_16x16x16_bf16 v[98:101], a[170:171], v[38:39], v[98:101]// 000000006384: D3E10062 0D8A4DAA
	ds_read_b128 a[200:203], v9 offset:51456                   // 00000000638C: DBFEC900 C8000009
	ds_read_b128 a[204:207], v9 offset:52480                   // 000000006394: DBFECD00 CC000009
	v_mfma_f32_16x16x16_bf16 v[102:105], a[172:173], v[38:39], v[102:105]// 00000000639C: D3E10066 0D9A4DAC
	v_mfma_f32_16x16x16_bf16 v[106:109], a[174:175], v[38:39], v[106:109]// 0000000063A4: D3E1006A 0DAA4DAE
	v_mfma_f32_16x16x16_bf16 v[110:113], a[176:177], v[38:39], v[110:113]// 0000000063AC: D3E1006E 0DBA4DB0
	v_mfma_f32_16x16x16_bf16 v[114:117], a[178:179], v[38:39], v[114:117]// 0000000063B4: D3E10072 0DCA4DB2
	v_mfma_f32_16x16x16_bf16 v[118:121], a[180:181], v[38:39], v[118:121]// 0000000063BC: D3E10076 0DDA4DB4
	s_waitcnt vmcnt(10) lgkmcnt(9)                             // 0000000063C4: BF8C097A
	s_barrier                                                  // 0000000063C8: BF8A0000
	v_mfma_f32_16x16x16_bf16 v[122:125], a[182:183], v[38:39], v[122:125]// 0000000063CC: D3E1007A 0DEA4DB6
	v_mfma_f32_16x16x16_bf16 v[126:129], a[184:185], v[38:39], v[126:129]// 0000000063D4: D3E1007E 0DFA4DB8
	ds_read_b64 v[26:27], v7                                   // 0000000063DC: D8EC0000 1A000007
	ds_read_b64 v[28:29], v7 offset:4640                       // 0000000063E4: D8EC1220 1C000007
	v_mfma_f32_16x16x16_bf16 v[130:133], a[186:187], v[38:39], v[130:133]// 0000000063EC: D3E10082 0E0A4DBA
	ds_read_b64 v[30:31], v7 offset:9280                       // 0000000063F4: D8EC2440 1E000007
	ds_read_b64 v[32:33], v7 offset:13920                      // 0000000063FC: D8EC3660 20000007
	v_mfma_f32_16x16x16_bf16 v[134:137], a[188:189], v[38:39], v[134:137]// 000000006404: D3E10086 0E1A4DBC
	ds_read_b128 a[144:147], v6                                // 00000000640C: DBFE0000 90000006
	v_mfma_f32_16x16x16_bf16 v[138:141], a[190:191], v[38:39], v[138:141]// 000000006414: D3E1008A 0E2A4DBE
	ds_read_b128 a[148:151], v6 offset:64                      // 00000000641C: DBFE0040 94000006
	v_mfma_f32_16x16x16_bf16 v[142:145], a[192:193], v[38:39], v[142:145]// 000000006424: D3E1008E 0E3A4DC0
	ds_read_b128 a[152:155], v6 offset:256                     // 00000000642C: DBFE0100 98000006
	v_mfma_f32_16x16x16_bf16 v[146:149], a[194:195], v[38:39], v[146:149]// 000000006434: D3E10092 0E4A4DC2
	ds_read_b128 a[156:159], v6 offset:320                     // 00000000643C: DBFE0140 9C000006
	v_mfma_f32_16x16x16_bf16 v[150:153], a[196:197], v[38:39], v[150:153]// 000000006444: D3E10096 0E5A4DC4
	ds_read_b128 a[160:163], v6 offset:512                     // 00000000644C: DBFE0200 A0000006
	v_mfma_f32_16x16x16_bf16 v[154:157], a[198:199], v[38:39], v[154:157]// 000000006454: D3E1009A 0E6A4DC6
	ds_read_b128 a[164:167], v6 offset:576                     // 00000000645C: DBFE0240 A4000006
	v_mfma_f32_16x16x16_bf16 v[158:161], a[200:201], v[38:39], v[158:161]// 000000006464: D3E1009E 0E7A4DC8
	ds_read_b128 a[168:171], v6 offset:768                     // 00000000646C: DBFE0300 A8000006
	v_mfma_f32_16x16x16_bf16 v[162:165], a[202:203], v[38:39], v[162:165]// 000000006474: D3E100A2 0E8A4DCA
	ds_read_b128 a[172:175], v6 offset:832                     // 00000000647C: DBFE0340 AC000006
	v_mfma_f32_16x16x16_bf16 v[166:169], a[204:205], v[38:39], v[166:169]// 000000006484: D3E100A6 0E9A4DCC
	s_waitcnt lgkmcnt(8)                                       // 00000000648C: BF8CC87F
	v_perm_b32 v174, v28, v26, s53                             // 000000006490: D1ED00AE 00D6351C
	v_perm_b32 v176, v28, v26, s52                             // 000000006498: D1ED00B0 00D2351C
	v_perm_b32 v175, v32, v30, s53                             // 0000000064A0: D1ED00AF 00D63D20
	v_perm_b32 v177, v32, v30, s52                             // 0000000064A8: D1ED00B1 00D23D20
	v_mfma_f32_16x16x16_bf16 v[170:173], a[206:207], v[38:39], v[170:173]// 0000000064B0: D3E100AA 0EAA4DCE
	ds_write_b128 v8, v[174:177] offset:37120                  // 0000000064B8: D9BE9100 0000AE08
	v_perm_b32 v174, v29, v27, s53                             // 0000000064C0: D1ED00AE 00D6371D
	v_perm_b32 v176, v29, v27, s52                             // 0000000064C8: D1ED00B0 00D2371D
	v_perm_b32 v175, v33, v31, s53                             // 0000000064D0: D1ED00AF 00D63F21
	v_perm_b32 v177, v33, v31, s52                             // 0000000064D8: D1ED00B1 00D23F21
	ds_write_b128 v8, v[174:177] offset:38144                  // 0000000064E0: D9BE9500 0000AE08
	ds_read_b64 v[26:27], v7 offset:1024                       // 0000000064E8: D8EC0400 1A000007
	ds_read_b64 v[28:29], v7 offset:5664                       // 0000000064F0: D8EC1620 1C000007
	ds_read_b64 v[30:31], v7 offset:10304                      // 0000000064F8: D8EC2840 1E000007
	ds_read_b64 v[32:33], v7 offset:14944                      // 000000006500: D8EC3A60 20000007
	s_nop 0                                                    // 000000006508: BF800000
	s_addk_i32 s70, 0x1                                        // 00000000650C: B7460001
	s_cmp_lt_i32 s70, s71                                      // 000000006510: BF044746
	s_cbranch_scc0 label_0AB5                                  // 000000006514: BF84FA2F
	s_branch label_0AB8                                        // 000000006518: BF82FA31

000000000000651c <label_1087>:
	s_cmp_eq_i32 s48, 0                                        // 00000000651C: BF008030
	s_cbranch_scc1 label_14B2                                  // 000000006520: BF850429

0000000000006524 <label_1089>:
	s_and_b32 s56, s71, 1                                      // 000000006524: 86388147
	s_cmp_eq_i32 s56, 1                                        // 000000006528: BF008138
	s_cbranch_scc1 label_129F                                  // 00000000652C: BF850213
	s_waitcnt lgkmcnt(4)                                       // 000000006530: BF8CC47F
	s_waitcnt vmcnt(0)                                         // 000000006534: BF8C0F70
	v_mfma_f32_16x16x16_bf16 v[38:41], a[144:145], a[0:1], 0   // 000000006538: D3E10026 1A020190
	s_barrier                                                  // 000000006540: BF8A0000
	ds_read_b128 a[176:179], v6 offset:1024                    // 000000006544: DBFE0400 B0000006
	ds_read_b128 a[180:183], v6 offset:1088                    // 00000000654C: DBFE0440 B4000006
	v_mfma_f32_16x16x16_bf16 v[38:41], a[146:147], a[2:3], v[38:41]// 000000006554: D3E10026 1C9A0592
	v_mfma_f32_16x16x16_bf16 v[38:41], a[148:149], a[4:5], v[38:41]// 00000000655C: D3E10026 1C9A0994
	v_mfma_f32_16x16x16_bf16 v[38:41], a[150:151], a[6:7], v[38:41]// 000000006564: D3E10026 1C9A0D96
	v_mfma_f32_16x16x16_bf16 v[38:41], a[152:153], a[8:9], v[38:41]// 00000000656C: D3E10026 1C9A1198
	s_barrier                                                  // 000000006574: BF8A0000
	ds_read_b128 a[184:187], v6 offset:1280                    // 000000006578: DBFE0500 B8000006
	ds_read_b128 a[188:191], v6 offset:1344                    // 000000006580: DBFE0540 BC000006
	v_mfma_f32_16x16x16_bf16 v[38:41], a[154:155], a[10:11], v[38:41]// 000000006588: D3E10026 1C9A159A
	v_mfma_f32_16x16x16_bf16 v[38:41], a[156:157], a[12:13], v[38:41]// 000000006590: D3E10026 1C9A199C
	v_mfma_f32_16x16x16_bf16 v[38:41], a[158:159], a[14:15], v[38:41]// 000000006598: D3E10026 1C9A1D9E
	s_waitcnt lgkmcnt(4)                                       // 0000000065A0: BF8CC47F
	v_mfma_f32_16x16x16_bf16 v[38:41], a[160:161], a[16:17], v[38:41]// 0000000065A4: D3E10026 1C9A21A0
	s_barrier                                                  // 0000000065AC: BF8A0000
	ds_read_b128 a[192:195], v6 offset:1536                    // 0000000065B0: DBFE0600 C0000006
	ds_read_b128 a[196:199], v6 offset:1600                    // 0000000065B8: DBFE0640 C4000006
	v_mfma_f32_16x16x16_bf16 v[38:41], a[162:163], a[18:19], v[38:41]// 0000000065C0: D3E10026 1C9A25A2
	v_mfma_f32_16x16x16_bf16 v[38:41], a[164:165], a[20:21], v[38:41]// 0000000065C8: D3E10026 1C9A29A4
	v_mfma_f32_16x16x16_bf16 v[38:41], a[166:167], a[22:23], v[38:41]// 0000000065D0: D3E10026 1C9A2DA6
	v_mfma_f32_16x16x16_bf16 v[38:41], a[168:169], a[24:25], v[38:41]// 0000000065D8: D3E10026 1C9A31A8
	s_barrier                                                  // 0000000065E0: BF8A0000
	ds_read_b128 a[200:203], v6 offset:1792                    // 0000000065E4: DBFE0700 C8000006
	ds_read_b128 a[204:207], v6 offset:1856                    // 0000000065EC: DBFE0740 CC000006
	v_mfma_f32_16x16x16_bf16 v[38:41], a[170:171], a[26:27], v[38:41]// 0000000065F4: D3E10026 1C9A35AA
	v_mfma_f32_16x16x16_bf16 v[38:41], a[172:173], a[28:29], v[38:41]// 0000000065FC: D3E10026 1C9A39AC
	v_mfma_f32_16x16x16_bf16 v[38:41], a[174:175], a[30:31], v[38:41]// 000000006604: D3E10026 1C9A3DAE
	s_waitcnt lgkmcnt(4)                                       // 00000000660C: BF8CC47F
	s_barrier                                                  // 000000006610: BF8A0000
	v_mfma_f32_16x16x16_bf16 v[38:41], a[176:177], a[32:33], v[38:41]// 000000006614: D3E10026 1C9A41B0
	s_barrier                                                  // 00000000661C: BF8A0000
	ds_read_b128 a[208:211], v6 offset:2048                    // 000000006620: DBFE0800 D0000006
	ds_read_b128 a[212:215], v6 offset:2112                    // 000000006628: DBFE0840 D4000006
	v_mfma_f32_16x16x16_bf16 v[38:41], a[178:179], a[34:35], v[38:41]// 000000006630: D3E10026 1C9A45B2
	v_mfma_f32_16x16x16_bf16 v[38:41], a[180:181], a[36:37], v[38:41]// 000000006638: D3E10026 1C9A49B4
	v_perm_b32 v174, v28, v26, s53                             // 000000006640: D1ED00AE 00D6351C
	v_perm_b32 v176, v28, v26, s52                             // 000000006648: D1ED00B0 00D2351C
	v_perm_b32 v175, v32, v30, s53                             // 000000006650: D1ED00AF 00D63D20
	v_perm_b32 v177, v32, v30, s52                             // 000000006658: D1ED00B1 00D23D20
	v_mfma_f32_16x16x16_bf16 v[38:41], a[182:183], a[38:39], v[38:41]// 000000006660: D3E10026 1C9A4DB6
	v_mfma_f32_16x16x16_bf16 v[38:41], a[184:185], a[40:41], v[38:41]// 000000006668: D3E10026 1C9A51B8
	s_barrier                                                  // 000000006670: BF8A0000
	ds_write_b128 v8, v[174:177] offset:45312                  // 000000006674: D9BEB100 0000AE08
	v_mfma_f32_16x16x16_bf16 v[38:41], a[186:187], a[42:43], v[38:41]// 00000000667C: D3E10026 1C9A55BA
	v_mfma_f32_16x16x16_bf16 v[38:41], a[188:189], a[44:45], v[38:41]// 000000006684: D3E10026 1C9A59BC
	v_perm_b32 v174, v29, v27, s53                             // 00000000668C: D1ED00AE 00D6371D
	v_perm_b32 v176, v29, v27, s52                             // 000000006694: D1ED00B0 00D2371D
	v_perm_b32 v175, v33, v31, s53                             // 00000000669C: D1ED00AF 00D63F21
	v_perm_b32 v177, v33, v31, s52                             // 0000000066A4: D1ED00B1 00D23F21
	v_mfma_f32_16x16x16_bf16 v[38:41], a[190:191], a[46:47], v[38:41]// 0000000066AC: D3E10026 1C9A5DBE
	s_waitcnt lgkmcnt(1)                                       // 0000000066B4: BF8CC17F
	s_barrier                                                  // 0000000066B8: BF8A0000
	v_mfma_f32_16x16x16_bf16 v[38:41], a[192:193], a[48:49], v[38:41]// 0000000066BC: D3E10026 1C9A61C0
	s_barrier                                                  // 0000000066C4: BF8A0000
	ds_write_b128 v8, v[174:177] offset:46336                  // 0000000066C8: D9BEB500 0000AE08
	v_mfma_f32_16x16x16_bf16 v[38:41], a[194:195], a[50:51], v[38:41]// 0000000066D0: D3E10026 1C9A65C2
	v_mfma_f32_16x16x16_bf16 v[38:41], a[196:197], a[52:53], v[38:41]// 0000000066D8: D3E10026 1C9A69C4
	v_mfma_f32_16x16x16_bf16 v[38:41], a[198:199], a[54:55], v[38:41]// 0000000066E0: D3E10026 1C9A6DC6
	v_mfma_f32_16x16x16_bf16 v[38:41], a[200:201], a[56:57], v[38:41]// 0000000066E8: D3E10026 1C9A71C8
	s_barrier                                                  // 0000000066F0: BF8A0000
	v_mfma_f32_16x16x16_bf16 v[38:41], a[202:203], a[58:59], v[38:41]// 0000000066F4: D3E10026 1C9A75CA
	v_mfma_f32_16x16x16_bf16 v[38:41], a[204:205], a[60:61], v[38:41]// 0000000066FC: D3E10026 1C9A79CC
	v_mfma_f32_16x16x16_bf16 v[38:41], a[206:207], a[62:63], v[38:41]// 000000006704: D3E10026 1C9A7DCE
	v_mfma_f32_16x16x16_bf16 v[38:41], a[208:209], a[64:65], v[38:41]// 00000000670C: D3E10026 1C9A81D0
	s_barrier                                                  // 000000006714: BF8A0000
	v_mfma_f32_16x16x16_bf16 v[38:41], a[210:211], a[66:67], v[38:41]// 000000006718: D3E10026 1C9A85D2
	v_mfma_f32_16x16x16_bf16 v[38:41], a[212:213], a[68:69], v[38:41]// 000000006720: D3E10026 1C9A89D4
	v_mfma_f32_16x16x16_bf16 v[38:41], a[214:215], a[70:71], v[38:41]// 000000006728: D3E10026 1C9A8DD6
	s_cmp_le_i32 s83, s82                                      // 000000006730: BF055253
	s_cbranch_scc1 label_1132                                  // 000000006734: BF850024
	v_mov_b32_e32 v31, 0xff800000                              // 000000006738: 7E3E02FF FF800000
	s_add_u32 s57, s82, 0                                      // 000000006740: 80398052
	v_mov_b32_e32 v30, s57                                     // 000000006744: 7E3C0239
	v_add_u32_e32 v30, s7, v30                                 // 000000006748: 683C3C07
	s_sub_u32 s56, s83, 15                                     // 00000000674C: 80B88F53
	v_lshrrev_b32_e32 v26, 4, v0                               // 000000006750: 20340084
	v_mul_i32_i24_e32 v26, 4, v26                              // 000000006754: 0C343484
	v_add_u32_e32 v26, s56, v26                                // 000000006758: 68343438
	v_add_u32_e32 v27, 1, v26                                  // 00000000675C: 68363481
	v_add_u32_e32 v28, 2, v26                                  // 000000006760: 68383482
	v_add_u32_e32 v29, 3, v26                                  // 000000006764: 683A3483
	v_cmp_le_u32_e64 s[38:39], v26, v30                        // 000000006768: D0CB0026 00023D1A
	v_add_u32_e32 v26, 64, v26                                 // 000000006770: 683434C0
	s_nop 0                                                    // 000000006774: BF800000
	v_cndmask_b32_e64 v38, v31, v38, s[38:39]                  // 000000006778: D1000026 009A4D1F
	v_cmp_le_u32_e64 s[38:39], v27, v30                        // 000000006780: D0CB0026 00023D1B
	v_add_u32_e32 v27, 64, v27                                 // 000000006788: 683636C0
	s_nop 0                                                    // 00000000678C: BF800000
	v_cndmask_b32_e64 v39, v31, v39, s[38:39]                  // 000000006790: D1000027 009A4F1F
	v_cmp_le_u32_e64 s[38:39], v28, v30                        // 000000006798: D0CB0026 00023D1C
	v_add_u32_e32 v28, 64, v28                                 // 0000000067A0: 683838C0
	s_nop 0                                                    // 0000000067A4: BF800000
	v_cndmask_b32_e64 v40, v31, v40, s[38:39]                  // 0000000067A8: D1000028 009A511F
	v_cmp_le_u32_e64 s[38:39], v29, v30                        // 0000000067B0: D0CB0026 00023D1D
	v_add_u32_e32 v29, 64, v29                                 // 0000000067B8: 683A3AC0
	s_nop 0                                                    // 0000000067BC: BF800000
	v_cndmask_b32_e64 v41, v31, v41, s[38:39]                  // 0000000067C0: D1000029 009A531F

00000000000067c8 <label_1132>:
	s_waitcnt lgkmcnt(0)                                       // 0000000067C8: BF8CC07F
	s_barrier                                                  // 0000000067CC: BF8A0000
	v_mov_b32_e32 v31, 0xff800000                              // 0000000067D0: 7E3E02FF FF800000
	s_and_b32 s56, s48, 0xff                                   // 0000000067D8: 8638FF30 000000FF
	v_mov_b32_e32 v30, s56                                     // 0000000067E0: 7E3C0238
	v_lshrrev_b32_e32 v26, 4, v0                               // 0000000067E4: 20340084
	v_mul_i32_i24_e32 v26, 4, v26                              // 0000000067E8: 0C343484
	v_add_u32_e32 v27, 1, v26                                  // 0000000067EC: 68363481
	v_add_u32_e32 v28, 2, v26                                  // 0000000067F0: 68383482
	v_add_u32_e32 v29, 3, v26                                  // 0000000067F4: 683A3483
	v_cmp_lt_u32_e64 s[38:39], v26, v30                        // 0000000067F8: D0C90026 00023D1A
	v_add_u32_e32 v26, 64, v26                                 // 000000006800: 683434C0
	s_nop 0                                                    // 000000006804: BF800000
	v_cndmask_b32_e64 v38, v31, v38, s[38:39]                  // 000000006808: D1000026 009A4D1F
	v_cmp_lt_u32_e64 s[38:39], v27, v30                        // 000000006810: D0C90026 00023D1B
	v_add_u32_e32 v27, 64, v27                                 // 000000006818: 683636C0
	s_nop 0                                                    // 00000000681C: BF800000
	v_cndmask_b32_e64 v39, v31, v39, s[38:39]                  // 000000006820: D1000027 009A4F1F
	v_cmp_lt_u32_e64 s[38:39], v28, v30                        // 000000006828: D0C90026 00023D1C
	v_add_u32_e32 v28, 64, v28                                 // 000000006830: 683838C0
	s_nop 0                                                    // 000000006834: BF800000
	v_cndmask_b32_e64 v40, v31, v40, s[38:39]                  // 000000006838: D1000028 009A511F
	v_cmp_lt_u32_e64 s[38:39], v29, v30                        // 000000006840: D0C90026 00023D1D
	v_add_u32_e32 v29, 64, v29                                 // 000000006848: 683A3AC0
	s_nop 0                                                    // 00000000684C: BF800000
	v_cndmask_b32_e64 v41, v31, v41, s[38:39]                  // 000000006850: D1000029 009A531F
	v_max3_f32 v30, v38, v39, v38                              // 000000006858: D1D3001E 049A4F26
	v_max3_f32 v30, v40, v41, v30                              // 000000006860: D1D3001E 047A5328
	ds_write_b32 v5, v30 offset:53504                          // 000000006868: D81AD100 00001E05
	s_waitcnt lgkmcnt(0)                                       // 000000006870: BF8CC07F
	ds_read_b32 v26, v4 offset:53504                           // 000000006874: D86CD100 1A000004
	ds_read_b32 v27, v4 offset:53568                           // 00000000687C: D86CD140 1B000004
	ds_read_b32 v28, v4 offset:53632                           // 000000006884: D86CD180 1C000004
	ds_read_b32 v29, v4 offset:53696                           // 00000000688C: D86CD1C0 1D000004
	s_waitcnt lgkmcnt(0)                                       // 000000006894: BF8CC07F
	v_max3_f32 v30, v26, v27, v30                              // 000000006898: D1D3001E 047A371A
	v_max3_f32 v30, v28, v29, v30                              // 0000000068A0: D1D3001E 047A3B1C
	ds_read_b128 a[144:147], v9 offset:37120                   // 0000000068A8: DBFE9100 90000009
	ds_read_b128 a[148:151], v9 offset:38144                   // 0000000068B0: DBFE9500 94000009
	ds_read_b128 a[152:155], v9 offset:39168                   // 0000000068B8: DBFE9900 98000009
	ds_read_b128 a[156:159], v9 offset:40192                   // 0000000068C0: DBFE9D00 9C000009
	ds_read_b128 a[160:163], v9 offset:41216                   // 0000000068C8: DBFEA100 A0000009
	ds_read_b128 a[164:167], v9 offset:42240                   // 0000000068D0: DBFEA500 A4000009
	ds_read_b128 a[168:171], v9 offset:43264                   // 0000000068D8: DBFEA900 A8000009
	ds_read_b128 a[172:175], v9 offset:44288                   // 0000000068E0: DBFEAD00 AC000009
	v_mov_b32_e32 v31, 0xff7fffff                              // 0000000068E8: 7E3E02FF FF7FFFFF
	v_cmp_eq_u32_e64 s[38:39], v31, v16                        // 0000000068F0: D0CA0026 0002211F
	v_max_f32_e32 v26, v30, v16                                // 0000000068F8: 1634211E
	v_sub_f32_e32 v20, v16, v26                                // 0000000068FC: 04283510
	v_cndmask_b32_e64 v20, v20, 0, s[38:39]                    // 000000006900: D1000014 00990114
	v_mov_b32_e32 v16, v26                                     // 000000006908: 7E20031A
	v_mul_f32_e32 v27, s5, v26                                 // 00000000690C: 0A363405
	v_mul_f32_e32 v20, s5, v20                                 // 000000006910: 0A282805
	v_exp_f32_e32 v20, v20                                     // 000000006914: 7E284114
	v_fma_f32 v38, v38, s5, -v27                               // 000000006918: D1CB0026 846C0B26
	v_fma_f32 v39, v39, s5, -v27                               // 000000006920: D1CB0027 846C0B27
	v_fma_f32 v40, v40, s5, -v27                               // 000000006928: D1CB0028 846C0B28
	v_fma_f32 v41, v41, s5, -v27                               // 000000006930: D1CB0029 846C0B29
	v_exp_f32_e32 v38, v38                                     // 000000006938: 7E4C4126
	v_exp_f32_e32 v39, v39                                     // 00000000693C: 7E4E4127
	v_exp_f32_e32 v40, v40                                     // 000000006940: 7E504128
	v_exp_f32_e32 v41, v41                                     // 000000006944: 7E524129
	v_mul_f32_e32 v18, v20, v18                                // 000000006948: 0A242514
	v_mov_b32_e32 v28, v38                                     // 00000000694C: 7E380326
	v_add_f32_e32 v28, v39, v28                                // 000000006950: 02383927
	v_add_f32_e32 v28, v40, v28                                // 000000006954: 02383928
	;; [unrolled: 1-line block ×3, first 2 shown]
	v_add_f32_e32 v18, v28, v18                                // 00000000695C: 0224251C
	v_mov_b32_e32 v35, 0xffff0000                              // 000000006960: 7E4602FF FFFF0000
	v_mov_b32_e32 v36, 0x7fff0000                              // 000000006968: 7E4802FF 7FFF0000
	v_mov_b32_e32 v37, 0x7fff                                  // 000000006970: 7E4A02FF 00007FFF
	v_cmp_u_f32_e64 s[38:39], v38, v38                         // 000000006978: D0480026 00024D26
	v_add3_u32 v34, v38, v37, 1                                // 000000006980: D1FF0022 02064B26
	v_cndmask_b32_e64 v26, v34, v36, s[38:39]                  // 000000006988: D100001A 009A4922
	v_cmp_u_f32_e64 s[38:39], v39, v39                         // 000000006990: D0480026 00024F27
	v_add3_u32 v34, v39, v37, 1                                // 000000006998: D1FF0022 02064B27
	v_cndmask_b32_e64 v27, v34, v36, s[38:39]                  // 0000000069A0: D100001B 009A4922
	v_perm_b32 v38, v27, v26, s52                              // 0000000069A8: D1ED0026 00D2351B
	v_cmp_u_f32_e64 s[38:39], v40, v40                         // 0000000069B0: D0480026 00025128
	v_add3_u32 v34, v40, v37, 1                                // 0000000069B8: D1FF0022 02064B28
	v_cndmask_b32_e64 v26, v34, v36, s[38:39]                  // 0000000069C0: D100001A 009A4922
	v_cmp_u_f32_e64 s[38:39], v41, v41                         // 0000000069C8: D0480026 00025329
	v_add3_u32 v34, v41, v37, 1                                // 0000000069D0: D1FF0022 02064B29
	v_cndmask_b32_e64 v27, v34, v36, s[38:39]                  // 0000000069D8: D100001B 009A4922
	v_perm_b32 v39, v27, v26, s52                              // 0000000069E0: D1ED0027 00D2351B
	s_nop 2                                                    // 0000000069E8: BF800002
	s_add_u32 s83, s84, s83                                    // 0000000069EC: 80535354
	s_nop 0                                                    // 0000000069F0: BF800000
	v_mov_b32_e32 v28, v20                                     // 0000000069F4: 7E380314
	v_mov_b32_e32 v29, v20                                     // 0000000069F8: 7E3A0314
	v_pk_mul_f32 v[46:47], v[28:29], v[46:47]                  // 0000000069FC: D3B1402E 18025D1C
	v_pk_mul_f32 v[48:49], v[28:29], v[48:49]                  // 000000006A04: D3B14030 1802611C
	v_pk_mul_f32 v[50:51], v[28:29], v[50:51]                  // 000000006A0C: D3B14032 1802651C
	v_pk_mul_f32 v[52:53], v[28:29], v[52:53]                  // 000000006A14: D3B14034 1802691C
	v_pk_mul_f32 v[54:55], v[28:29], v[54:55]                  // 000000006A1C: D3B14036 18026D1C
	v_pk_mul_f32 v[56:57], v[28:29], v[56:57]                  // 000000006A24: D3B14038 1802711C
	v_pk_mul_f32 v[58:59], v[28:29], v[58:59]                  // 000000006A2C: D3B1403A 1802751C
	v_pk_mul_f32 v[60:61], v[28:29], v[60:61]                  // 000000006A34: D3B1403C 1802791C
	v_pk_mul_f32 v[62:63], v[28:29], v[62:63]                  // 000000006A3C: D3B1403E 18027D1C
	v_pk_mul_f32 v[64:65], v[28:29], v[64:65]                  // 000000006A44: D3B14040 1802811C
	v_pk_mul_f32 v[66:67], v[28:29], v[66:67]                  // 000000006A4C: D3B14042 1802851C
	v_pk_mul_f32 v[68:69], v[28:29], v[68:69]                  // 000000006A54: D3B14044 1802891C
	v_pk_mul_f32 v[70:71], v[28:29], v[70:71]                  // 000000006A5C: D3B14046 18028D1C
	v_pk_mul_f32 v[72:73], v[28:29], v[72:73]                  // 000000006A64: D3B14048 1802911C
	v_pk_mul_f32 v[74:75], v[28:29], v[74:75]                  // 000000006A6C: D3B1404A 1802951C
	v_pk_mul_f32 v[76:77], v[28:29], v[76:77]                  // 000000006A74: D3B1404C 1802991C
	v_pk_mul_f32 v[78:79], v[28:29], v[78:79]                  // 000000006A7C: D3B1404E 18029D1C
	v_pk_mul_f32 v[80:81], v[28:29], v[80:81]                  // 000000006A84: D3B14050 1802A11C
	v_pk_mul_f32 v[82:83], v[28:29], v[82:83]                  // 000000006A8C: D3B14052 1802A51C
	v_pk_mul_f32 v[84:85], v[28:29], v[84:85]                  // 000000006A94: D3B14054 1802A91C
	v_pk_mul_f32 v[86:87], v[28:29], v[86:87]                  // 000000006A9C: D3B14056 1802AD1C
	v_pk_mul_f32 v[88:89], v[28:29], v[88:89]                  // 000000006AA4: D3B14058 1802B11C
	v_pk_mul_f32 v[90:91], v[28:29], v[90:91]                  // 000000006AAC: D3B1405A 1802B51C
	v_pk_mul_f32 v[92:93], v[28:29], v[92:93]                  // 000000006AB4: D3B1405C 1802B91C
	v_pk_mul_f32 v[94:95], v[28:29], v[94:95]                  // 000000006ABC: D3B1405E 1802BD1C
	v_pk_mul_f32 v[96:97], v[28:29], v[96:97]                  // 000000006AC4: D3B14060 1802C11C
	v_pk_mul_f32 v[98:99], v[28:29], v[98:99]                  // 000000006ACC: D3B14062 1802C51C
	v_pk_mul_f32 v[100:101], v[28:29], v[100:101]              // 000000006AD4: D3B14064 1802C91C
	v_pk_mul_f32 v[102:103], v[28:29], v[102:103]              // 000000006ADC: D3B14066 1802CD1C
	v_pk_mul_f32 v[104:105], v[28:29], v[104:105]              // 000000006AE4: D3B14068 1802D11C
	v_pk_mul_f32 v[106:107], v[28:29], v[106:107]              // 000000006AEC: D3B1406A 1802D51C
	v_pk_mul_f32 v[108:109], v[28:29], v[108:109]              // 000000006AF4: D3B1406C 1802D91C
	v_pk_mul_f32 v[110:111], v[28:29], v[110:111]              // 000000006AFC: D3B1406E 1802DD1C
	v_pk_mul_f32 v[112:113], v[28:29], v[112:113]              // 000000006B04: D3B14070 1802E11C
	v_pk_mul_f32 v[114:115], v[28:29], v[114:115]              // 000000006B0C: D3B14072 1802E51C
	v_pk_mul_f32 v[116:117], v[28:29], v[116:117]              // 000000006B14: D3B14074 1802E91C
	v_pk_mul_f32 v[118:119], v[28:29], v[118:119]              // 000000006B1C: D3B14076 1802ED1C
	v_pk_mul_f32 v[120:121], v[28:29], v[120:121]              // 000000006B24: D3B14078 1802F11C
	v_pk_mul_f32 v[122:123], v[28:29], v[122:123]              // 000000006B2C: D3B1407A 1802F51C
	v_pk_mul_f32 v[124:125], v[28:29], v[124:125]              // 000000006B34: D3B1407C 1802F91C
	v_pk_mul_f32 v[126:127], v[28:29], v[126:127]              // 000000006B3C: D3B1407E 1802FD1C
	v_pk_mul_f32 v[128:129], v[28:29], v[128:129]              // 000000006B44: D3B14080 1803011C
	v_pk_mul_f32 v[130:131], v[28:29], v[130:131]              // 000000006B4C: D3B14082 1803051C
	v_pk_mul_f32 v[132:133], v[28:29], v[132:133]              // 000000006B54: D3B14084 1803091C
	v_pk_mul_f32 v[134:135], v[28:29], v[134:135]              // 000000006B5C: D3B14086 18030D1C
	v_pk_mul_f32 v[136:137], v[28:29], v[136:137]              // 000000006B64: D3B14088 1803111C
	v_pk_mul_f32 v[138:139], v[28:29], v[138:139]              // 000000006B6C: D3B1408A 1803151C
	v_pk_mul_f32 v[140:141], v[28:29], v[140:141]              // 000000006B74: D3B1408C 1803191C
	v_pk_mul_f32 v[142:143], v[28:29], v[142:143]              // 000000006B7C: D3B1408E 18031D1C
	v_pk_mul_f32 v[144:145], v[28:29], v[144:145]              // 000000006B84: D3B14090 1803211C
	v_pk_mul_f32 v[146:147], v[28:29], v[146:147]              // 000000006B8C: D3B14092 1803251C
	v_pk_mul_f32 v[148:149], v[28:29], v[148:149]              // 000000006B94: D3B14094 1803291C
	v_pk_mul_f32 v[150:151], v[28:29], v[150:151]              // 000000006B9C: D3B14096 18032D1C
	v_pk_mul_f32 v[152:153], v[28:29], v[152:153]              // 000000006BA4: D3B14098 1803311C
	v_pk_mul_f32 v[154:155], v[28:29], v[154:155]              // 000000006BAC: D3B1409A 1803351C
	v_pk_mul_f32 v[156:157], v[28:29], v[156:157]              // 000000006BB4: D3B1409C 1803391C
	v_pk_mul_f32 v[158:159], v[28:29], v[158:159]              // 000000006BBC: D3B1409E 18033D1C
	v_pk_mul_f32 v[160:161], v[28:29], v[160:161]              // 000000006BC4: D3B140A0 1803411C
	v_pk_mul_f32 v[162:163], v[28:29], v[162:163]              // 000000006BCC: D3B140A2 1803451C
	v_pk_mul_f32 v[164:165], v[28:29], v[164:165]              // 000000006BD4: D3B140A4 1803491C
	v_pk_mul_f32 v[166:167], v[28:29], v[166:167]              // 000000006BDC: D3B140A6 18034D1C
	v_pk_mul_f32 v[168:169], v[28:29], v[168:169]              // 000000006BE4: D3B140A8 1803511C
	v_pk_mul_f32 v[170:171], v[28:29], v[170:171]              // 000000006BEC: D3B140AA 1803551C
	v_pk_mul_f32 v[172:173], v[28:29], v[172:173]              // 000000006BF4: D3B140AC 1803591C
	s_waitcnt lgkmcnt(0)                                       // 000000006BFC: BF8CC07F
	v_mfma_f32_16x16x16_bf16 v[46:49], a[144:145], v[38:39], v[46:49]// 000000006C00: D3E1002E 0CBA4D90
	ds_read_b128 a[176:179], v9 offset:45312                   // 000000006C08: DBFEB100 B0000009
	ds_read_b128 a[180:183], v9 offset:46336                   // 000000006C10: DBFEB500 B4000009
	v_mfma_f32_16x16x16_bf16 v[50:53], a[146:147], v[38:39], v[50:53]// 000000006C18: D3E10032 0CCA4D92
	v_mfma_f32_16x16x16_bf16 v[54:57], a[148:149], v[38:39], v[54:57]// 000000006C20: D3E10036 0CDA4D94
	ds_write_b64 v182, v[206:207] offset:19072                 // 000000006C28: D89A4A80 0000CEB6
	v_mfma_f32_16x16x16_bf16 v[58:61], a[150:151], v[38:39], v[58:61]// 000000006C30: D3E1003A 0CEA4D96
	ds_write_b64 v182, v[208:209] offset:19328                 // 000000006C38: D89A4B80 0000D0B6
	v_mfma_f32_16x16x16_bf16 v[62:65], a[152:153], v[38:39], v[62:65]// 000000006C40: D3E1003E 0CFA4D98
	ds_read_b128 a[184:187], v9 offset:47360                   // 000000006C48: DBFEB900 B8000009
	ds_read_b128 a[188:191], v9 offset:48384                   // 000000006C50: DBFEBD00 BC000009
	v_mfma_f32_16x16x16_bf16 v[66:69], a[154:155], v[38:39], v[66:69]// 000000006C58: D3E10042 0D0A4D9A
	v_mfma_f32_16x16x16_bf16 v[70:73], a[156:157], v[38:39], v[70:73]// 000000006C60: D3E10046 0D1A4D9C
	ds_write_b64 v182, v[210:211] offset:19584                 // 000000006C68: D89A4C80 0000D2B6
	v_mfma_f32_16x16x16_bf16 v[74:77], a[158:159], v[38:39], v[74:77]// 000000006C70: D3E1004A 0D2A4D9E
	ds_write_b64 v182, v[212:213] offset:19840                 // 000000006C78: D89A4D80 0000D4B6
	v_mfma_f32_16x16x16_bf16 v[78:81], a[160:161], v[38:39], v[78:81]// 000000006C80: D3E1004E 0D3A4DA0
	ds_read_b128 a[192:195], v9 offset:49408                   // 000000006C88: DBFEC100 C0000009
	ds_read_b128 a[196:199], v9 offset:50432                   // 000000006C90: DBFEC500 C4000009
	v_mfma_f32_16x16x16_bf16 v[82:85], a[162:163], v[38:39], v[82:85]// 000000006C98: D3E10052 0D4A4DA2
	v_mfma_f32_16x16x16_bf16 v[86:89], a[164:165], v[38:39], v[86:89]// 000000006CA0: D3E10056 0D5A4DA4
	ds_write_b64 v182, v[214:215] offset:20096                 // 000000006CA8: D89A4E80 0000D6B6
	v_mfma_f32_16x16x16_bf16 v[90:93], a[166:167], v[38:39], v[90:93]// 000000006CB0: D3E1005A 0D6A4DA6
	s_waitcnt lgkmcnt(4)                                       // 000000006CB8: BF8CC47F
	v_mfma_f32_16x16x16_bf16 v[94:97], a[168:169], v[38:39], v[94:97]// 000000006CBC: D3E1005E 0D7A4DA8
	ds_read_b128 a[200:203], v9 offset:51456                   // 000000006CC4: DBFEC900 C8000009
	ds_read_b128 a[204:207], v9 offset:52480                   // 000000006CCC: DBFECD00 CC000009
	v_mfma_f32_16x16x16_bf16 v[98:101], a[170:171], v[38:39], v[98:101]// 000000006CD4: D3E10062 0D8A4DAA
	v_mfma_f32_16x16x16_bf16 v[102:105], a[172:173], v[38:39], v[102:105]// 000000006CDC: D3E10066 0D9A4DAC
	v_mfma_f32_16x16x16_bf16 v[106:109], a[174:175], v[38:39], v[106:109]// 000000006CE4: D3E1006A 0DAA4DAE
	v_mfma_f32_16x16x16_bf16 v[110:113], a[176:177], v[38:39], v[110:113]// 000000006CEC: D3E1006E 0DBA4DB0
	v_mfma_f32_16x16x16_bf16 v[114:117], a[178:179], v[38:39], v[114:117]// 000000006CF4: D3E10072 0DCA4DB2
	v_mfma_f32_16x16x16_bf16 v[118:121], a[180:181], v[38:39], v[118:121]// 000000006CFC: D3E10076 0DDA4DB4
	s_waitcnt vmcnt(10) lgkmcnt(9)                             // 000000006D04: BF8C097A
	s_barrier                                                  // 000000006D08: BF8A0000
	v_mfma_f32_16x16x16_bf16 v[122:125], a[182:183], v[38:39], v[122:125]// 000000006D0C: D3E1007A 0DEA4DB6
	v_mfma_f32_16x16x16_bf16 v[126:129], a[184:185], v[38:39], v[126:129]// 000000006D14: D3E1007E 0DFA4DB8
	v_mfma_f32_16x16x16_bf16 v[130:133], a[186:187], v[38:39], v[130:133]// 000000006D1C: D3E10082 0E0A4DBA
	v_mfma_f32_16x16x16_bf16 v[134:137], a[188:189], v[38:39], v[134:137]// 000000006D24: D3E10086 0E1A4DBC
	v_mfma_f32_16x16x16_bf16 v[138:141], a[190:191], v[38:39], v[138:141]// 000000006D2C: D3E1008A 0E2A4DBE
	v_mfma_f32_16x16x16_bf16 v[142:145], a[192:193], v[38:39], v[142:145]// 000000006D34: D3E1008E 0E3A4DC0
	v_mfma_f32_16x16x16_bf16 v[146:149], a[194:195], v[38:39], v[146:149]// 000000006D3C: D3E10092 0E4A4DC2
	v_mfma_f32_16x16x16_bf16 v[150:153], a[196:197], v[38:39], v[150:153]// 000000006D44: D3E10096 0E5A4DC4
	v_mfma_f32_16x16x16_bf16 v[154:157], a[198:199], v[38:39], v[154:157]// 000000006D4C: D3E1009A 0E6A4DC6
	v_mfma_f32_16x16x16_bf16 v[158:161], a[200:201], v[38:39], v[158:161]// 000000006D54: D3E1009E 0E7A4DC8
	v_mfma_f32_16x16x16_bf16 v[162:165], a[202:203], v[38:39], v[162:165]// 000000006D5C: D3E100A2 0E8A4DCA
	v_mfma_f32_16x16x16_bf16 v[166:169], a[204:205], v[38:39], v[166:169]// 000000006D64: D3E100A6 0E9A4DCC
	v_mfma_f32_16x16x16_bf16 v[170:173], a[206:207], v[38:39], v[170:173]// 000000006D6C: D3E100AA 0EAA4DCE
	s_nop 8                                                    // 000000006D74: BF800008
	s_branch label_14B2                                        // 000000006D78: BF820213

0000000000006d7c <label_129F>:
	s_waitcnt lgkmcnt(4)                                       // 000000006D7C: BF8CC47F
	s_waitcnt vmcnt(0)                                         // 000000006D80: BF8C0F70
	v_mfma_f32_16x16x16_bf16 v[38:41], a[144:145], a[0:1], 0   // 000000006D84: D3E10026 1A020190
	s_barrier                                                  // 000000006D8C: BF8A0000
	ds_read_b128 a[176:179], v6 offset:19584                   // 000000006D90: DBFE4C80 B0000006
	ds_read_b128 a[180:183], v6 offset:19648                   // 000000006D98: DBFE4CC0 B4000006
	v_mfma_f32_16x16x16_bf16 v[38:41], a[146:147], a[2:3], v[38:41]// 000000006DA0: D3E10026 1C9A0592
	v_mfma_f32_16x16x16_bf16 v[38:41], a[148:149], a[4:5], v[38:41]// 000000006DA8: D3E10026 1C9A0994
	v_mfma_f32_16x16x16_bf16 v[38:41], a[150:151], a[6:7], v[38:41]// 000000006DB0: D3E10026 1C9A0D96
	v_mfma_f32_16x16x16_bf16 v[38:41], a[152:153], a[8:9], v[38:41]// 000000006DB8: D3E10026 1C9A1198
	s_barrier                                                  // 000000006DC0: BF8A0000
	ds_read_b128 a[184:187], v6 offset:19840                   // 000000006DC4: DBFE4D80 B8000006
	ds_read_b128 a[188:191], v6 offset:19904                   // 000000006DCC: DBFE4DC0 BC000006
	v_mfma_f32_16x16x16_bf16 v[38:41], a[154:155], a[10:11], v[38:41]// 000000006DD4: D3E10026 1C9A159A
	v_mfma_f32_16x16x16_bf16 v[38:41], a[156:157], a[12:13], v[38:41]// 000000006DDC: D3E10026 1C9A199C
	v_mfma_f32_16x16x16_bf16 v[38:41], a[158:159], a[14:15], v[38:41]// 000000006DE4: D3E10026 1C9A1D9E
	s_waitcnt lgkmcnt(4)                                       // 000000006DEC: BF8CC47F
	v_mfma_f32_16x16x16_bf16 v[38:41], a[160:161], a[16:17], v[38:41]// 000000006DF0: D3E10026 1C9A21A0
	s_barrier                                                  // 000000006DF8: BF8A0000
	ds_read_b128 a[192:195], v6 offset:20096                   // 000000006DFC: DBFE4E80 C0000006
	ds_read_b128 a[196:199], v6 offset:20160                   // 000000006E04: DBFE4EC0 C4000006
	v_mfma_f32_16x16x16_bf16 v[38:41], a[162:163], a[18:19], v[38:41]// 000000006E0C: D3E10026 1C9A25A2
	v_mfma_f32_16x16x16_bf16 v[38:41], a[164:165], a[20:21], v[38:41]// 000000006E14: D3E10026 1C9A29A4
	v_mfma_f32_16x16x16_bf16 v[38:41], a[166:167], a[22:23], v[38:41]// 000000006E1C: D3E10026 1C9A2DA6
	v_mfma_f32_16x16x16_bf16 v[38:41], a[168:169], a[24:25], v[38:41]// 000000006E24: D3E10026 1C9A31A8
	s_barrier                                                  // 000000006E2C: BF8A0000
	ds_read_b128 a[200:203], v6 offset:20352                   // 000000006E30: DBFE4F80 C8000006
	ds_read_b128 a[204:207], v6 offset:20416                   // 000000006E38: DBFE4FC0 CC000006
	v_mfma_f32_16x16x16_bf16 v[38:41], a[170:171], a[26:27], v[38:41]// 000000006E40: D3E10026 1C9A35AA
	v_mfma_f32_16x16x16_bf16 v[38:41], a[172:173], a[28:29], v[38:41]// 000000006E48: D3E10026 1C9A39AC
	v_mfma_f32_16x16x16_bf16 v[38:41], a[174:175], a[30:31], v[38:41]// 000000006E50: D3E10026 1C9A3DAE
	s_waitcnt lgkmcnt(4)                                       // 000000006E58: BF8CC47F
	s_barrier                                                  // 000000006E5C: BF8A0000
	v_mfma_f32_16x16x16_bf16 v[38:41], a[176:177], a[32:33], v[38:41]// 000000006E60: D3E10026 1C9A41B0
	s_barrier                                                  // 000000006E68: BF8A0000
	ds_read_b128 a[208:211], v6 offset:20608                   // 000000006E6C: DBFE5080 D0000006
	ds_read_b128 a[212:215], v6 offset:20672                   // 000000006E74: DBFE50C0 D4000006
	v_mfma_f32_16x16x16_bf16 v[38:41], a[178:179], a[34:35], v[38:41]// 000000006E7C: D3E10026 1C9A45B2
	v_mfma_f32_16x16x16_bf16 v[38:41], a[180:181], a[36:37], v[38:41]// 000000006E84: D3E10026 1C9A49B4
	v_perm_b32 v174, v28, v26, s53                             // 000000006E8C: D1ED00AE 00D6351C
	v_perm_b32 v176, v28, v26, s52                             // 000000006E94: D1ED00B0 00D2351C
	v_perm_b32 v175, v32, v30, s53                             // 000000006E9C: D1ED00AF 00D63D20
	v_perm_b32 v177, v32, v30, s52                             // 000000006EA4: D1ED00B1 00D23D20
	v_mfma_f32_16x16x16_bf16 v[38:41], a[182:183], a[38:39], v[38:41]// 000000006EAC: D3E10026 1C9A4DB6
	v_mfma_f32_16x16x16_bf16 v[38:41], a[184:185], a[40:41], v[38:41]// 000000006EB4: D3E10026 1C9A51B8
	s_barrier                                                  // 000000006EBC: BF8A0000
	ds_write_b128 v8, v[174:177] offset:45312                  // 000000006EC0: D9BEB100 0000AE08
	v_mfma_f32_16x16x16_bf16 v[38:41], a[186:187], a[42:43], v[38:41]// 000000006EC8: D3E10026 1C9A55BA
	v_mfma_f32_16x16x16_bf16 v[38:41], a[188:189], a[44:45], v[38:41]// 000000006ED0: D3E10026 1C9A59BC
	v_perm_b32 v174, v29, v27, s53                             // 000000006ED8: D1ED00AE 00D6371D
	v_perm_b32 v176, v29, v27, s52                             // 000000006EE0: D1ED00B0 00D2371D
	v_perm_b32 v175, v33, v31, s53                             // 000000006EE8: D1ED00AF 00D63F21
	v_perm_b32 v177, v33, v31, s52                             // 000000006EF0: D1ED00B1 00D23F21
	v_mfma_f32_16x16x16_bf16 v[38:41], a[190:191], a[46:47], v[38:41]// 000000006EF8: D3E10026 1C9A5DBE
	s_waitcnt lgkmcnt(1)                                       // 000000006F00: BF8CC17F
	s_barrier                                                  // 000000006F04: BF8A0000
	v_mfma_f32_16x16x16_bf16 v[38:41], a[192:193], a[48:49], v[38:41]// 000000006F08: D3E10026 1C9A61C0
	s_barrier                                                  // 000000006F10: BF8A0000
	ds_write_b128 v8, v[174:177] offset:46336                  // 000000006F14: D9BEB500 0000AE08
	v_mfma_f32_16x16x16_bf16 v[38:41], a[194:195], a[50:51], v[38:41]// 000000006F1C: D3E10026 1C9A65C2
	v_mfma_f32_16x16x16_bf16 v[38:41], a[196:197], a[52:53], v[38:41]// 000000006F24: D3E10026 1C9A69C4
	v_mfma_f32_16x16x16_bf16 v[38:41], a[198:199], a[54:55], v[38:41]// 000000006F2C: D3E10026 1C9A6DC6
	v_mfma_f32_16x16x16_bf16 v[38:41], a[200:201], a[56:57], v[38:41]// 000000006F34: D3E10026 1C9A71C8
	s_barrier                                                  // 000000006F3C: BF8A0000
	v_mfma_f32_16x16x16_bf16 v[38:41], a[202:203], a[58:59], v[38:41]// 000000006F40: D3E10026 1C9A75CA
	v_mfma_f32_16x16x16_bf16 v[38:41], a[204:205], a[60:61], v[38:41]// 000000006F48: D3E10026 1C9A79CC
	v_mfma_f32_16x16x16_bf16 v[38:41], a[206:207], a[62:63], v[38:41]// 000000006F50: D3E10026 1C9A7DCE
	v_mfma_f32_16x16x16_bf16 v[38:41], a[208:209], a[64:65], v[38:41]// 000000006F58: D3E10026 1C9A81D0
	s_barrier                                                  // 000000006F60: BF8A0000
	v_mfma_f32_16x16x16_bf16 v[38:41], a[210:211], a[66:67], v[38:41]// 000000006F64: D3E10026 1C9A85D2
	v_mfma_f32_16x16x16_bf16 v[38:41], a[212:213], a[68:69], v[38:41]// 000000006F6C: D3E10026 1C9A89D4
	v_mfma_f32_16x16x16_bf16 v[38:41], a[214:215], a[70:71], v[38:41]// 000000006F74: D3E10026 1C9A8DD6
	s_cmp_le_i32 s83, s82                                      // 000000006F7C: BF055253
	s_cbranch_scc1 label_1345                                  // 000000006F80: BF850024
	v_mov_b32_e32 v31, 0xff800000                              // 000000006F84: 7E3E02FF FF800000
	s_add_u32 s57, s82, 0                                      // 000000006F8C: 80398052
	v_mov_b32_e32 v30, s57                                     // 000000006F90: 7E3C0239
	v_add_u32_e32 v30, s7, v30                                 // 000000006F94: 683C3C07
	s_sub_u32 s56, s83, 15                                     // 000000006F98: 80B88F53
	v_lshrrev_b32_e32 v26, 4, v0                               // 000000006F9C: 20340084
	v_mul_i32_i24_e32 v26, 4, v26                              // 000000006FA0: 0C343484
	v_add_u32_e32 v26, s56, v26                                // 000000006FA4: 68343438
	v_add_u32_e32 v27, 1, v26                                  // 000000006FA8: 68363481
	v_add_u32_e32 v28, 2, v26                                  // 000000006FAC: 68383482
	v_add_u32_e32 v29, 3, v26                                  // 000000006FB0: 683A3483
	v_cmp_le_u32_e64 s[38:39], v26, v30                        // 000000006FB4: D0CB0026 00023D1A
	v_add_u32_e32 v26, 64, v26                                 // 000000006FBC: 683434C0
	s_nop 0                                                    // 000000006FC0: BF800000
	v_cndmask_b32_e64 v38, v31, v38, s[38:39]                  // 000000006FC4: D1000026 009A4D1F
	v_cmp_le_u32_e64 s[38:39], v27, v30                        // 000000006FCC: D0CB0026 00023D1B
	v_add_u32_e32 v27, 64, v27                                 // 000000006FD4: 683636C0
	s_nop 0                                                    // 000000006FD8: BF800000
	v_cndmask_b32_e64 v39, v31, v39, s[38:39]                  // 000000006FDC: D1000027 009A4F1F
	v_cmp_le_u32_e64 s[38:39], v28, v30                        // 000000006FE4: D0CB0026 00023D1C
	v_add_u32_e32 v28, 64, v28                                 // 000000006FEC: 683838C0
	s_nop 0                                                    // 000000006FF0: BF800000
	v_cndmask_b32_e64 v40, v31, v40, s[38:39]                  // 000000006FF4: D1000028 009A511F
	v_cmp_le_u32_e64 s[38:39], v29, v30                        // 000000006FFC: D0CB0026 00023D1D
	v_add_u32_e32 v29, 64, v29                                 // 000000007004: 683A3AC0
	s_nop 0                                                    // 000000007008: BF800000
	v_cndmask_b32_e64 v41, v31, v41, s[38:39]                  // 00000000700C: D1000029 009A531F

0000000000007014 <label_1345>:
	s_waitcnt lgkmcnt(0)                                       // 000000007014: BF8CC07F
	s_barrier                                                  // 000000007018: BF8A0000
	v_mov_b32_e32 v31, 0xff800000                              // 00000000701C: 7E3E02FF FF800000
	s_and_b32 s56, s48, 0xff                                   // 000000007024: 8638FF30 000000FF
	v_mov_b32_e32 v30, s56                                     // 00000000702C: 7E3C0238
	v_lshrrev_b32_e32 v26, 4, v0                               // 000000007030: 20340084
	v_mul_i32_i24_e32 v26, 4, v26                              // 000000007034: 0C343484
	v_add_u32_e32 v27, 1, v26                                  // 000000007038: 68363481
	v_add_u32_e32 v28, 2, v26                                  // 00000000703C: 68383482
	v_add_u32_e32 v29, 3, v26                                  // 000000007040: 683A3483
	v_cmp_lt_u32_e64 s[38:39], v26, v30                        // 000000007044: D0C90026 00023D1A
	v_add_u32_e32 v26, 64, v26                                 // 00000000704C: 683434C0
	s_nop 0                                                    // 000000007050: BF800000
	v_cndmask_b32_e64 v38, v31, v38, s[38:39]                  // 000000007054: D1000026 009A4D1F
	v_cmp_lt_u32_e64 s[38:39], v27, v30                        // 00000000705C: D0C90026 00023D1B
	v_add_u32_e32 v27, 64, v27                                 // 000000007064: 683636C0
	s_nop 0                                                    // 000000007068: BF800000
	v_cndmask_b32_e64 v39, v31, v39, s[38:39]                  // 00000000706C: D1000027 009A4F1F
	v_cmp_lt_u32_e64 s[38:39], v28, v30                        // 000000007074: D0C90026 00023D1C
	v_add_u32_e32 v28, 64, v28                                 // 00000000707C: 683838C0
	s_nop 0                                                    // 000000007080: BF800000
	v_cndmask_b32_e64 v40, v31, v40, s[38:39]                  // 000000007084: D1000028 009A511F
	v_cmp_lt_u32_e64 s[38:39], v29, v30                        // 00000000708C: D0C90026 00023D1D
	v_add_u32_e32 v29, 64, v29                                 // 000000007094: 683A3AC0
	s_nop 0                                                    // 000000007098: BF800000
	v_cndmask_b32_e64 v41, v31, v41, s[38:39]                  // 00000000709C: D1000029 009A531F
	v_max3_f32 v30, v38, v39, v38                              // 0000000070A4: D1D3001E 049A4F26
	v_max3_f32 v30, v40, v41, v30                              // 0000000070AC: D1D3001E 047A5328
	ds_write_b32 v5, v30 offset:53504                          // 0000000070B4: D81AD100 00001E05
	s_waitcnt lgkmcnt(0)                                       // 0000000070BC: BF8CC07F
	ds_read_b32 v26, v4 offset:53504                           // 0000000070C0: D86CD100 1A000004
	ds_read_b32 v27, v4 offset:53568                           // 0000000070C8: D86CD140 1B000004
	ds_read_b32 v28, v4 offset:53632                           // 0000000070D0: D86CD180 1C000004
	ds_read_b32 v29, v4 offset:53696                           // 0000000070D8: D86CD1C0 1D000004
	s_waitcnt lgkmcnt(0)                                       // 0000000070E0: BF8CC07F
	v_max3_f32 v30, v26, v27, v30                              // 0000000070E4: D1D3001E 047A371A
	v_max3_f32 v30, v28, v29, v30                              // 0000000070EC: D1D3001E 047A3B1C
	ds_read_b128 a[144:147], v9 offset:37120                   // 0000000070F4: DBFE9100 90000009
	ds_read_b128 a[148:151], v9 offset:38144                   // 0000000070FC: DBFE9500 94000009
	ds_read_b128 a[152:155], v9 offset:39168                   // 000000007104: DBFE9900 98000009
	ds_read_b128 a[156:159], v9 offset:40192                   // 00000000710C: DBFE9D00 9C000009
	ds_read_b128 a[160:163], v9 offset:41216                   // 000000007114: DBFEA100 A0000009
	ds_read_b128 a[164:167], v9 offset:42240                   // 00000000711C: DBFEA500 A4000009
	ds_read_b128 a[168:171], v9 offset:43264                   // 000000007124: DBFEA900 A8000009
	ds_read_b128 a[172:175], v9 offset:44288                   // 00000000712C: DBFEAD00 AC000009
	v_mov_b32_e32 v31, 0xff7fffff                              // 000000007134: 7E3E02FF FF7FFFFF
	v_cmp_eq_u32_e64 s[38:39], v31, v16                        // 00000000713C: D0CA0026 0002211F
	v_max_f32_e32 v26, v30, v16                                // 000000007144: 1634211E
	v_sub_f32_e32 v20, v16, v26                                // 000000007148: 04283510
	v_cndmask_b32_e64 v20, v20, 0, s[38:39]                    // 00000000714C: D1000014 00990114
	v_mov_b32_e32 v16, v26                                     // 000000007154: 7E20031A
	v_mul_f32_e32 v27, s5, v26                                 // 000000007158: 0A363405
	v_mul_f32_e32 v20, s5, v20                                 // 00000000715C: 0A282805
	v_exp_f32_e32 v20, v20                                     // 000000007160: 7E284114
	v_fma_f32 v38, v38, s5, -v27                               // 000000007164: D1CB0026 846C0B26
	v_fma_f32 v39, v39, s5, -v27                               // 00000000716C: D1CB0027 846C0B27
	v_fma_f32 v40, v40, s5, -v27                               // 000000007174: D1CB0028 846C0B28
	v_fma_f32 v41, v41, s5, -v27                               // 00000000717C: D1CB0029 846C0B29
	v_exp_f32_e32 v38, v38                                     // 000000007184: 7E4C4126
	v_exp_f32_e32 v39, v39                                     // 000000007188: 7E4E4127
	v_exp_f32_e32 v40, v40                                     // 00000000718C: 7E504128
	v_exp_f32_e32 v41, v41                                     // 000000007190: 7E524129
	v_mul_f32_e32 v18, v20, v18                                // 000000007194: 0A242514
	v_mov_b32_e32 v28, v38                                     // 000000007198: 7E380326
	v_add_f32_e32 v28, v39, v28                                // 00000000719C: 02383927
	v_add_f32_e32 v28, v40, v28                                // 0000000071A0: 02383928
	v_add_f32_e32 v28, v41, v28                                // 0000000071A4: 02383929
	v_add_f32_e32 v18, v28, v18                                // 0000000071A8: 0224251C
	v_mov_b32_e32 v35, 0xffff0000                              // 0000000071AC: 7E4602FF FFFF0000
	v_mov_b32_e32 v36, 0x7fff0000                              // 0000000071B4: 7E4802FF 7FFF0000
	v_mov_b32_e32 v37, 0x7fff                                  // 0000000071BC: 7E4A02FF 00007FFF
	v_cmp_u_f32_e64 s[38:39], v38, v38                         // 0000000071C4: D0480026 00024D26
	v_add3_u32 v34, v38, v37, 1                                // 0000000071CC: D1FF0022 02064B26
	v_cndmask_b32_e64 v26, v34, v36, s[38:39]                  // 0000000071D4: D100001A 009A4922
	v_cmp_u_f32_e64 s[38:39], v39, v39                         // 0000000071DC: D0480026 00024F27
	v_add3_u32 v34, v39, v37, 1                                // 0000000071E4: D1FF0022 02064B27
	v_cndmask_b32_e64 v27, v34, v36, s[38:39]                  // 0000000071EC: D100001B 009A4922
	v_perm_b32 v38, v27, v26, s52                              // 0000000071F4: D1ED0026 00D2351B
	v_cmp_u_f32_e64 s[38:39], v40, v40                         // 0000000071FC: D0480026 00025128
	v_add3_u32 v34, v40, v37, 1                                // 000000007204: D1FF0022 02064B28
	v_cndmask_b32_e64 v26, v34, v36, s[38:39]                  // 00000000720C: D100001A 009A4922
	v_cmp_u_f32_e64 s[38:39], v41, v41                         // 000000007214: D0480026 00025329
	v_add3_u32 v34, v41, v37, 1                                // 00000000721C: D1FF0022 02064B29
	v_cndmask_b32_e64 v27, v34, v36, s[38:39]                  // 000000007224: D100001B 009A4922
	v_perm_b32 v39, v27, v26, s52                              // 00000000722C: D1ED0027 00D2351B
	s_nop 2                                                    // 000000007234: BF800002
	s_add_u32 s83, s84, s83                                    // 000000007238: 80535354
	s_nop 0                                                    // 00000000723C: BF800000
	v_mov_b32_e32 v28, v20                                     // 000000007240: 7E380314
	v_mov_b32_e32 v29, v20                                     // 000000007244: 7E3A0314
	v_pk_mul_f32 v[46:47], v[28:29], v[46:47]                  // 000000007248: D3B1402E 18025D1C
	v_pk_mul_f32 v[48:49], v[28:29], v[48:49]                  // 000000007250: D3B14030 1802611C
	v_pk_mul_f32 v[50:51], v[28:29], v[50:51]                  // 000000007258: D3B14032 1802651C
	v_pk_mul_f32 v[52:53], v[28:29], v[52:53]                  // 000000007260: D3B14034 1802691C
	v_pk_mul_f32 v[54:55], v[28:29], v[54:55]                  // 000000007268: D3B14036 18026D1C
	v_pk_mul_f32 v[56:57], v[28:29], v[56:57]                  // 000000007270: D3B14038 1802711C
	v_pk_mul_f32 v[58:59], v[28:29], v[58:59]                  // 000000007278: D3B1403A 1802751C
	v_pk_mul_f32 v[60:61], v[28:29], v[60:61]                  // 000000007280: D3B1403C 1802791C
	v_pk_mul_f32 v[62:63], v[28:29], v[62:63]                  // 000000007288: D3B1403E 18027D1C
	v_pk_mul_f32 v[64:65], v[28:29], v[64:65]                  // 000000007290: D3B14040 1802811C
	v_pk_mul_f32 v[66:67], v[28:29], v[66:67]                  // 000000007298: D3B14042 1802851C
	v_pk_mul_f32 v[68:69], v[28:29], v[68:69]                  // 0000000072A0: D3B14044 1802891C
	v_pk_mul_f32 v[70:71], v[28:29], v[70:71]                  // 0000000072A8: D3B14046 18028D1C
	v_pk_mul_f32 v[72:73], v[28:29], v[72:73]                  // 0000000072B0: D3B14048 1802911C
	v_pk_mul_f32 v[74:75], v[28:29], v[74:75]                  // 0000000072B8: D3B1404A 1802951C
	v_pk_mul_f32 v[76:77], v[28:29], v[76:77]                  // 0000000072C0: D3B1404C 1802991C
	v_pk_mul_f32 v[78:79], v[28:29], v[78:79]                  // 0000000072C8: D3B1404E 18029D1C
	v_pk_mul_f32 v[80:81], v[28:29], v[80:81]                  // 0000000072D0: D3B14050 1802A11C
	v_pk_mul_f32 v[82:83], v[28:29], v[82:83]                  // 0000000072D8: D3B14052 1802A51C
	v_pk_mul_f32 v[84:85], v[28:29], v[84:85]                  // 0000000072E0: D3B14054 1802A91C
	v_pk_mul_f32 v[86:87], v[28:29], v[86:87]                  // 0000000072E8: D3B14056 1802AD1C
	v_pk_mul_f32 v[88:89], v[28:29], v[88:89]                  // 0000000072F0: D3B14058 1802B11C
	v_pk_mul_f32 v[90:91], v[28:29], v[90:91]                  // 0000000072F8: D3B1405A 1802B51C
	v_pk_mul_f32 v[92:93], v[28:29], v[92:93]                  // 000000007300: D3B1405C 1802B91C
	v_pk_mul_f32 v[94:95], v[28:29], v[94:95]                  // 000000007308: D3B1405E 1802BD1C
	v_pk_mul_f32 v[96:97], v[28:29], v[96:97]                  // 000000007310: D3B14060 1802C11C
	v_pk_mul_f32 v[98:99], v[28:29], v[98:99]                  // 000000007318: D3B14062 1802C51C
	v_pk_mul_f32 v[100:101], v[28:29], v[100:101]              // 000000007320: D3B14064 1802C91C
	v_pk_mul_f32 v[102:103], v[28:29], v[102:103]              // 000000007328: D3B14066 1802CD1C
	v_pk_mul_f32 v[104:105], v[28:29], v[104:105]              // 000000007330: D3B14068 1802D11C
	v_pk_mul_f32 v[106:107], v[28:29], v[106:107]              // 000000007338: D3B1406A 1802D51C
	v_pk_mul_f32 v[108:109], v[28:29], v[108:109]              // 000000007340: D3B1406C 1802D91C
	v_pk_mul_f32 v[110:111], v[28:29], v[110:111]              // 000000007348: D3B1406E 1802DD1C
	v_pk_mul_f32 v[112:113], v[28:29], v[112:113]              // 000000007350: D3B14070 1802E11C
	v_pk_mul_f32 v[114:115], v[28:29], v[114:115]              // 000000007358: D3B14072 1802E51C
	v_pk_mul_f32 v[116:117], v[28:29], v[116:117]              // 000000007360: D3B14074 1802E91C
	v_pk_mul_f32 v[118:119], v[28:29], v[118:119]              // 000000007368: D3B14076 1802ED1C
	v_pk_mul_f32 v[120:121], v[28:29], v[120:121]              // 000000007370: D3B14078 1802F11C
	v_pk_mul_f32 v[122:123], v[28:29], v[122:123]              // 000000007378: D3B1407A 1802F51C
	v_pk_mul_f32 v[124:125], v[28:29], v[124:125]              // 000000007380: D3B1407C 1802F91C
	v_pk_mul_f32 v[126:127], v[28:29], v[126:127]              // 000000007388: D3B1407E 1802FD1C
	v_pk_mul_f32 v[128:129], v[28:29], v[128:129]              // 000000007390: D3B14080 1803011C
	v_pk_mul_f32 v[130:131], v[28:29], v[130:131]              // 000000007398: D3B14082 1803051C
	v_pk_mul_f32 v[132:133], v[28:29], v[132:133]              // 0000000073A0: D3B14084 1803091C
	v_pk_mul_f32 v[134:135], v[28:29], v[134:135]              // 0000000073A8: D3B14086 18030D1C
	v_pk_mul_f32 v[136:137], v[28:29], v[136:137]              // 0000000073B0: D3B14088 1803111C
	v_pk_mul_f32 v[138:139], v[28:29], v[138:139]              // 0000000073B8: D3B1408A 1803151C
	v_pk_mul_f32 v[140:141], v[28:29], v[140:141]              // 0000000073C0: D3B1408C 1803191C
	v_pk_mul_f32 v[142:143], v[28:29], v[142:143]              // 0000000073C8: D3B1408E 18031D1C
	v_pk_mul_f32 v[144:145], v[28:29], v[144:145]              // 0000000073D0: D3B14090 1803211C
	v_pk_mul_f32 v[146:147], v[28:29], v[146:147]              // 0000000073D8: D3B14092 1803251C
	v_pk_mul_f32 v[148:149], v[28:29], v[148:149]              // 0000000073E0: D3B14094 1803291C
	v_pk_mul_f32 v[150:151], v[28:29], v[150:151]              // 0000000073E8: D3B14096 18032D1C
	v_pk_mul_f32 v[152:153], v[28:29], v[152:153]              // 0000000073F0: D3B14098 1803311C
	v_pk_mul_f32 v[154:155], v[28:29], v[154:155]              // 0000000073F8: D3B1409A 1803351C
	v_pk_mul_f32 v[156:157], v[28:29], v[156:157]              // 000000007400: D3B1409C 1803391C
	v_pk_mul_f32 v[158:159], v[28:29], v[158:159]              // 000000007408: D3B1409E 18033D1C
	v_pk_mul_f32 v[160:161], v[28:29], v[160:161]              // 000000007410: D3B140A0 1803411C
	v_pk_mul_f32 v[162:163], v[28:29], v[162:163]              // 000000007418: D3B140A2 1803451C
	v_pk_mul_f32 v[164:165], v[28:29], v[164:165]              // 000000007420: D3B140A4 1803491C
	v_pk_mul_f32 v[166:167], v[28:29], v[166:167]              // 000000007428: D3B140A6 18034D1C
	v_pk_mul_f32 v[168:169], v[28:29], v[168:169]              // 000000007430: D3B140A8 1803511C
	v_pk_mul_f32 v[170:171], v[28:29], v[170:171]              // 000000007438: D3B140AA 1803551C
	v_pk_mul_f32 v[172:173], v[28:29], v[172:173]              // 000000007440: D3B140AC 1803591C
	s_waitcnt lgkmcnt(0)                                       // 000000007448: BF8CC07F
	v_mfma_f32_16x16x16_bf16 v[46:49], a[144:145], v[38:39], v[46:49]// 00000000744C: D3E1002E 0CBA4D90
	ds_read_b128 a[176:179], v9 offset:45312                   // 000000007454: DBFEB100 B0000009
	ds_read_b128 a[180:183], v9 offset:46336                   // 00000000745C: DBFEB500 B4000009
	v_mfma_f32_16x16x16_bf16 v[50:53], a[146:147], v[38:39], v[50:53]// 000000007464: D3E10032 0CCA4D92
	v_mfma_f32_16x16x16_bf16 v[54:57], a[148:149], v[38:39], v[54:57]// 00000000746C: D3E10036 0CDA4D94
	ds_write_b64 v182, v[188:189] offset:512                   // 000000007474: D89A0200 0000BCB6
	v_mfma_f32_16x16x16_bf16 v[58:61], a[150:151], v[38:39], v[58:61]// 00000000747C: D3E1003A 0CEA4D96
	ds_write_b64 v182, v[190:191] offset:768                   // 000000007484: D89A0300 0000BEB6
	v_mfma_f32_16x16x16_bf16 v[62:65], a[152:153], v[38:39], v[62:65]// 00000000748C: D3E1003E 0CFA4D98
	ds_read_b128 a[184:187], v9 offset:47360                   // 000000007494: DBFEB900 B8000009
	ds_read_b128 a[188:191], v9 offset:48384                   // 00000000749C: DBFEBD00 BC000009
	v_mfma_f32_16x16x16_bf16 v[66:69], a[154:155], v[38:39], v[66:69]// 0000000074A4: D3E10042 0D0A4D9A
	v_mfma_f32_16x16x16_bf16 v[70:73], a[156:157], v[38:39], v[70:73]// 0000000074AC: D3E10046 0D1A4D9C
	ds_write_b64 v182, v[192:193] offset:1024                  // 0000000074B4: D89A0400 0000C0B6
	v_mfma_f32_16x16x16_bf16 v[74:77], a[158:159], v[38:39], v[74:77]// 0000000074BC: D3E1004A 0D2A4D9E
	ds_write_b64 v182, v[194:195] offset:1280                  // 0000000074C4: D89A0500 0000C2B6
	v_mfma_f32_16x16x16_bf16 v[78:81], a[160:161], v[38:39], v[78:81]// 0000000074CC: D3E1004E 0D3A4DA0
	ds_read_b128 a[192:195], v9 offset:49408                   // 0000000074D4: DBFEC100 C0000009
	ds_read_b128 a[196:199], v9 offset:50432                   // 0000000074DC: DBFEC500 C4000009
	v_mfma_f32_16x16x16_bf16 v[82:85], a[162:163], v[38:39], v[82:85]// 0000000074E4: D3E10052 0D4A4DA2
	v_mfma_f32_16x16x16_bf16 v[86:89], a[164:165], v[38:39], v[86:89]// 0000000074EC: D3E10056 0D5A4DA4
	ds_write_b64 v182, v[196:197] offset:1536                  // 0000000074F4: D89A0600 0000C4B6
	v_mfma_f32_16x16x16_bf16 v[90:93], a[166:167], v[38:39], v[90:93]// 0000000074FC: D3E1005A 0D6A4DA6
	s_waitcnt lgkmcnt(4)                                       // 000000007504: BF8CC47F
	v_mfma_f32_16x16x16_bf16 v[94:97], a[168:169], v[38:39], v[94:97]// 000000007508: D3E1005E 0D7A4DA8
	ds_read_b128 a[200:203], v9 offset:51456                   // 000000007510: DBFEC900 C8000009
	ds_read_b128 a[204:207], v9 offset:52480                   // 000000007518: DBFECD00 CC000009
	v_mfma_f32_16x16x16_bf16 v[98:101], a[170:171], v[38:39], v[98:101]// 000000007520: D3E10062 0D8A4DAA
	v_mfma_f32_16x16x16_bf16 v[102:105], a[172:173], v[38:39], v[102:105]// 000000007528: D3E10066 0D9A4DAC
	v_mfma_f32_16x16x16_bf16 v[106:109], a[174:175], v[38:39], v[106:109]// 000000007530: D3E1006A 0DAA4DAE
	v_mfma_f32_16x16x16_bf16 v[110:113], a[176:177], v[38:39], v[110:113]// 000000007538: D3E1006E 0DBA4DB0
	v_mfma_f32_16x16x16_bf16 v[114:117], a[178:179], v[38:39], v[114:117]// 000000007540: D3E10072 0DCA4DB2
	v_mfma_f32_16x16x16_bf16 v[118:121], a[180:181], v[38:39], v[118:121]// 000000007548: D3E10076 0DDA4DB4
	s_waitcnt vmcnt(10) lgkmcnt(9)                             // 000000007550: BF8C097A
	s_barrier                                                  // 000000007554: BF8A0000
	v_mfma_f32_16x16x16_bf16 v[122:125], a[182:183], v[38:39], v[122:125]// 000000007558: D3E1007A 0DEA4DB6
	v_mfma_f32_16x16x16_bf16 v[126:129], a[184:185], v[38:39], v[126:129]// 000000007560: D3E1007E 0DFA4DB8
	v_mfma_f32_16x16x16_bf16 v[130:133], a[186:187], v[38:39], v[130:133]// 000000007568: D3E10082 0E0A4DBA
	v_mfma_f32_16x16x16_bf16 v[134:137], a[188:189], v[38:39], v[134:137]// 000000007570: D3E10086 0E1A4DBC
	v_mfma_f32_16x16x16_bf16 v[138:141], a[190:191], v[38:39], v[138:141]// 000000007578: D3E1008A 0E2A4DBE
	v_mfma_f32_16x16x16_bf16 v[142:145], a[192:193], v[38:39], v[142:145]// 000000007580: D3E1008E 0E3A4DC0
	v_mfma_f32_16x16x16_bf16 v[146:149], a[194:195], v[38:39], v[146:149]// 000000007588: D3E10092 0E4A4DC2
	v_mfma_f32_16x16x16_bf16 v[150:153], a[196:197], v[38:39], v[150:153]// 000000007590: D3E10096 0E5A4DC4
	v_mfma_f32_16x16x16_bf16 v[154:157], a[198:199], v[38:39], v[154:157]// 000000007598: D3E1009A 0E6A4DC6
	v_mfma_f32_16x16x16_bf16 v[158:161], a[200:201], v[38:39], v[158:161]// 0000000075A0: D3E1009E 0E7A4DC8
	v_mfma_f32_16x16x16_bf16 v[162:165], a[202:203], v[38:39], v[162:165]// 0000000075A8: D3E100A2 0E8A4DCA
	v_mfma_f32_16x16x16_bf16 v[166:169], a[204:205], v[38:39], v[166:169]// 0000000075B0: D3E100A6 0E9A4DCC
	v_mfma_f32_16x16x16_bf16 v[170:173], a[206:207], v[38:39], v[170:173]// 0000000075B8: D3E100AA 0EAA4DCE
	s_nop 8                                                    // 0000000075C0: BF800008
	s_branch label_14B2                                        // 0000000075C4: BF820000

00000000000075c8 <label_14B2>:
	ds_write_b32 v5, v18 offset:55552                          // 0000000075C8: D81AD900 00001205
	ds_write_b32 v5, v19 offset:56576                          // 0000000075D0: D81ADD00 00001305
	s_waitcnt lgkmcnt(0)                                       // 0000000075D8: BF8CC07F
	ds_read_b32 v26, v4 offset:55552                           // 0000000075DC: D86CD900 1A000004
	ds_read_b32 v27, v4 offset:55616                           // 0000000075E4: D86CD940 1B000004
	ds_read_b32 v28, v4 offset:55680                           // 0000000075EC: D86CD980 1C000004
	ds_read_b32 v29, v4 offset:55744                           // 0000000075F4: D86CD9C0 1D000004
	ds_read_b32 v30, v4 offset:56576                           // 0000000075FC: D86CDD00 1E000004
	ds_read_b32 v31, v4 offset:56640                           // 000000007604: D86CDD40 1F000004
	ds_read_b32 v32, v4 offset:56704                           // 00000000760C: D86CDD80 20000004
	ds_read_b32 v33, v4 offset:56768                           // 000000007614: D86CDDC0 21000004
	s_waitcnt lgkmcnt(0)                                       // 00000000761C: BF8CC07F
	v_mov_b32_e32 v18, 0                                       // 000000007620: 7E240280
	v_mov_b32_e32 v19, 0                                       // 000000007624: 7E260280
	v_add_f32_e32 v18, v26, v18                                // 000000007628: 0224251A
	v_add_f32_e32 v19, v30, v19                                // 00000000762C: 0226271E
	v_add_f32_e32 v18, v27, v18                                // 000000007630: 0224251B
	v_add_f32_e32 v19, v31, v19                                // 000000007634: 0226271F
	v_add_f32_e32 v18, v28, v18                                // 000000007638: 0224251C
	v_add_f32_e32 v19, v32, v19                                // 00000000763C: 02262720
	v_add_f32_e32 v18, v29, v18                                // 000000007640: 0224251D
	v_add_f32_e32 v19, v33, v19                                // 000000007644: 02262721
	v_mov_b32_e32 v26, 0                                       // 000000007648: 7E340280
	v_cmp_eq_u32_e64 s[38:39], v26, v18                        // 00000000764C: D0CA0026 0002251A
	v_cmp_eq_u32_e64 s[40:41], v26, v19                        // 000000007654: D0CA0028 0002271A
	v_mul_f32_e64 v26, v16, s64                                // 00000000765C: D105001A 00008110
	v_mul_f32_e64 v28, v17, s64                                // 000000007664: D105001C 00008111
	v_log_f32_e32 v27, v18                                     // 00000000766C: 7E364312
	v_log_f32_e32 v29, v19                                     // 000000007670: 7E3A4313
	v_cndmask_b32_e64 v18, v18, 1.0, s[38:39]                  // 000000007674: D1000012 0099E512
	v_cndmask_b32_e64 v19, v19, 1.0, s[40:41]                  // 00000000767C: D1000013 00A1E513
	s_nop 1                                                    // 000000007684: BF800001
	v_rcp_f32_e32 v18, v18                                     // 000000007688: 7E244512
	v_rcp_f32_e32 v19, v19                                     // 00000000768C: 7E264513
	s_nop 1                                                    // 000000007690: BF800001
	v_fma_f32 v30, v27, s63, v26                               // 000000007694: D1CB001E 04687F1B
	v_fma_f32 v31, v29, s63, v28                               // 00000000769C: D1CB001F 04707F1D
	v_mul_f32_e32 v46, v18, v46                                // 0000000076A4: 0A5C5D12
	v_mul_f32_e32 v47, v18, v47                                // 0000000076A8: 0A5E5F12
	v_mul_f32_e32 v48, v18, v48                                // 0000000076AC: 0A606112
	v_mul_f32_e32 v49, v18, v49                                // 0000000076B0: 0A626312
	v_mul_f32_e32 v50, v18, v50                                // 0000000076B4: 0A646512
	v_mul_f32_e32 v51, v18, v51                                // 0000000076B8: 0A666712
	v_mul_f32_e32 v52, v18, v52                                // 0000000076BC: 0A686912
	v_mul_f32_e32 v53, v18, v53                                // 0000000076C0: 0A6A6B12
	v_mul_f32_e32 v54, v18, v54                                // 0000000076C4: 0A6C6D12
	v_mul_f32_e32 v55, v18, v55                                // 0000000076C8: 0A6E6F12
	v_mul_f32_e32 v56, v18, v56                                // 0000000076CC: 0A707112
	v_mul_f32_e32 v57, v18, v57                                // 0000000076D0: 0A727312
	v_mul_f32_e32 v58, v18, v58                                // 0000000076D4: 0A747512
	v_mul_f32_e32 v59, v18, v59                                // 0000000076D8: 0A767712
	v_mul_f32_e32 v60, v18, v60                                // 0000000076DC: 0A787912
	v_mul_f32_e32 v61, v18, v61                                // 0000000076E0: 0A7A7B12
	v_mul_f32_e32 v62, v18, v62                                // 0000000076E4: 0A7C7D12
	v_mul_f32_e32 v63, v18, v63                                // 0000000076E8: 0A7E7F12
	v_mul_f32_e32 v64, v18, v64                                // 0000000076EC: 0A808112
	v_mul_f32_e32 v65, v18, v65                                // 0000000076F0: 0A828312
	v_mul_f32_e32 v66, v18, v66                                // 0000000076F4: 0A848512
	v_mul_f32_e32 v67, v18, v67                                // 0000000076F8: 0A868712
	v_mul_f32_e32 v68, v18, v68                                // 0000000076FC: 0A888912
	v_mul_f32_e32 v69, v18, v69                                // 000000007700: 0A8A8B12
	v_mul_f32_e32 v70, v18, v70                                // 000000007704: 0A8C8D12
	v_mul_f32_e32 v71, v18, v71                                // 000000007708: 0A8E8F12
	v_mul_f32_e32 v72, v18, v72                                // 00000000770C: 0A909112
	v_mul_f32_e32 v73, v18, v73                                // 000000007710: 0A929312
	v_mul_f32_e32 v74, v18, v74                                // 000000007714: 0A949512
	v_mul_f32_e32 v75, v18, v75                                // 000000007718: 0A969712
	v_mul_f32_e32 v76, v18, v76                                // 00000000771C: 0A989912
	v_mul_f32_e32 v77, v18, v77                                // 000000007720: 0A9A9B12
	v_mul_f32_e32 v78, v18, v78                                // 000000007724: 0A9C9D12
	v_mul_f32_e32 v79, v18, v79                                // 000000007728: 0A9E9F12
	v_mul_f32_e32 v80, v18, v80                                // 00000000772C: 0AA0A112
	v_mul_f32_e32 v81, v18, v81                                // 000000007730: 0AA2A312
	v_mul_f32_e32 v82, v18, v82                                // 000000007734: 0AA4A512
	v_mul_f32_e32 v83, v18, v83                                // 000000007738: 0AA6A712
	v_mul_f32_e32 v84, v18, v84                                // 00000000773C: 0AA8A912
	v_mul_f32_e32 v85, v18, v85                                // 000000007740: 0AAAAB12
	v_mul_f32_e32 v86, v18, v86                                // 000000007744: 0AACAD12
	v_mul_f32_e32 v87, v18, v87                                // 000000007748: 0AAEAF12
	v_mul_f32_e32 v88, v18, v88                                // 00000000774C: 0AB0B112
	v_mul_f32_e32 v89, v18, v89                                // 000000007750: 0AB2B312
	v_mul_f32_e32 v90, v18, v90                                // 000000007754: 0AB4B512
	v_mul_f32_e32 v91, v18, v91                                // 000000007758: 0AB6B712
	v_mul_f32_e32 v92, v18, v92                                // 00000000775C: 0AB8B912
	v_mul_f32_e32 v93, v18, v93                                // 000000007760: 0ABABB12
	v_mul_f32_e32 v94, v18, v94                                // 000000007764: 0ABCBD12
	v_mul_f32_e32 v95, v18, v95                                // 000000007768: 0ABEBF12
	v_mul_f32_e32 v96, v18, v96                                // 00000000776C: 0AC0C112
	v_mul_f32_e32 v97, v18, v97                                // 000000007770: 0AC2C312
	v_mul_f32_e32 v98, v18, v98                                // 000000007774: 0AC4C512
	v_mul_f32_e32 v99, v18, v99                                // 000000007778: 0AC6C712
	v_mul_f32_e32 v100, v18, v100                              // 00000000777C: 0AC8C912
	v_mul_f32_e32 v101, v18, v101                              // 000000007780: 0ACACB12
	v_mul_f32_e32 v102, v18, v102                              // 000000007784: 0ACCCD12
	v_mul_f32_e32 v103, v18, v103                              // 000000007788: 0ACECF12
	v_mul_f32_e32 v104, v18, v104                              // 00000000778C: 0AD0D112
	v_mul_f32_e32 v105, v18, v105                              // 000000007790: 0AD2D312
	v_mul_f32_e32 v106, v18, v106                              // 000000007794: 0AD4D512
	v_mul_f32_e32 v107, v18, v107                              // 000000007798: 0AD6D712
	v_mul_f32_e32 v108, v18, v108                              // 00000000779C: 0AD8D912
	v_mul_f32_e32 v109, v18, v109                              // 0000000077A0: 0ADADB12
	v_mul_f32_e32 v110, v18, v110                              // 0000000077A4: 0ADCDD12
	v_mul_f32_e32 v111, v18, v111                              // 0000000077A8: 0ADEDF12
	v_mul_f32_e32 v112, v18, v112                              // 0000000077AC: 0AE0E112
	v_mul_f32_e32 v113, v18, v113                              // 0000000077B0: 0AE2E312
	v_mul_f32_e32 v114, v18, v114                              // 0000000077B4: 0AE4E512
	v_mul_f32_e32 v115, v18, v115                              // 0000000077B8: 0AE6E712
	v_mul_f32_e32 v116, v18, v116                              // 0000000077BC: 0AE8E912
	v_mul_f32_e32 v117, v18, v117                              // 0000000077C0: 0AEAEB12
	v_mul_f32_e32 v118, v18, v118                              // 0000000077C4: 0AECED12
	v_mul_f32_e32 v119, v18, v119                              // 0000000077C8: 0AEEEF12
	v_mul_f32_e32 v120, v18, v120                              // 0000000077CC: 0AF0F112
	v_mul_f32_e32 v121, v18, v121                              // 0000000077D0: 0AF2F312
	v_mul_f32_e32 v122, v18, v122                              // 0000000077D4: 0AF4F512
	v_mul_f32_e32 v123, v18, v123                              // 0000000077D8: 0AF6F712
	v_mul_f32_e32 v124, v18, v124                              // 0000000077DC: 0AF8F912
	v_mul_f32_e32 v125, v18, v125                              // 0000000077E0: 0AFAFB12
	v_mul_f32_e32 v126, v18, v126                              // 0000000077E4: 0AFCFD12
	v_mul_f32_e32 v127, v18, v127                              // 0000000077E8: 0AFEFF12
	v_mul_f32_e32 v128, v18, v128                              // 0000000077EC: 0B010112
	v_mul_f32_e32 v129, v18, v129                              // 0000000077F0: 0B030312
	v_mul_f32_e32 v130, v18, v130                              // 0000000077F4: 0B050512
	v_mul_f32_e32 v131, v18, v131                              // 0000000077F8: 0B070712
	v_mul_f32_e32 v132, v18, v132                              // 0000000077FC: 0B090912
	v_mul_f32_e32 v133, v18, v133                              // 000000007800: 0B0B0B12
	v_mul_f32_e32 v134, v18, v134                              // 000000007804: 0B0D0D12
	v_mul_f32_e32 v135, v18, v135                              // 000000007808: 0B0F0F12
	v_mul_f32_e32 v136, v18, v136                              // 00000000780C: 0B111112
	v_mul_f32_e32 v137, v18, v137                              // 000000007810: 0B131312
	v_mul_f32_e32 v138, v18, v138                              // 000000007814: 0B151512
	v_mul_f32_e32 v139, v18, v139                              // 000000007818: 0B171712
	v_mul_f32_e32 v140, v18, v140                              // 00000000781C: 0B191912
	v_mul_f32_e32 v141, v18, v141                              // 000000007820: 0B1B1B12
	v_mul_f32_e32 v142, v18, v142                              // 000000007824: 0B1D1D12
	v_mul_f32_e32 v143, v18, v143                              // 000000007828: 0B1F1F12
	v_mul_f32_e32 v144, v18, v144                              // 00000000782C: 0B212112
	v_mul_f32_e32 v145, v18, v145                              // 000000007830: 0B232312
	v_mul_f32_e32 v146, v18, v146                              // 000000007834: 0B252512
	v_mul_f32_e32 v147, v18, v147                              // 000000007838: 0B272712
	v_mul_f32_e32 v148, v18, v148                              // 00000000783C: 0B292912
	v_mul_f32_e32 v149, v18, v149                              // 000000007840: 0B2B2B12
	v_mul_f32_e32 v150, v18, v150                              // 000000007844: 0B2D2D12
	v_mul_f32_e32 v151, v18, v151                              // 000000007848: 0B2F2F12
	v_mul_f32_e32 v152, v18, v152                              // 00000000784C: 0B313112
	v_mul_f32_e32 v153, v18, v153                              // 000000007850: 0B333312
	v_mul_f32_e32 v154, v18, v154                              // 000000007854: 0B353512
	v_mul_f32_e32 v155, v18, v155                              // 000000007858: 0B373712
	v_mul_f32_e32 v156, v18, v156                              // 00000000785C: 0B393912
	v_mul_f32_e32 v157, v18, v157                              // 000000007860: 0B3B3B12
	v_mul_f32_e32 v158, v18, v158                              // 000000007864: 0B3D3D12
	v_mul_f32_e32 v159, v18, v159                              // 000000007868: 0B3F3F12
	v_mul_f32_e32 v160, v18, v160                              // 00000000786C: 0B414112
	v_mul_f32_e32 v161, v18, v161                              // 000000007870: 0B434312
	v_mul_f32_e32 v162, v18, v162                              // 000000007874: 0B454512
	v_mul_f32_e32 v163, v18, v163                              // 000000007878: 0B474712
	v_mul_f32_e32 v164, v18, v164                              // 00000000787C: 0B494912
	v_mul_f32_e32 v165, v18, v165                              // 000000007880: 0B4B4B12
	v_mul_f32_e32 v166, v18, v166                              // 000000007884: 0B4D4D12
	v_mul_f32_e32 v167, v18, v167                              // 000000007888: 0B4F4F12
	v_mul_f32_e32 v168, v18, v168                              // 00000000788C: 0B515112
	v_mul_f32_e32 v169, v18, v169                              // 000000007890: 0B535312
	v_mul_f32_e32 v170, v18, v170                              // 000000007894: 0B555512
	v_mul_f32_e32 v171, v18, v171                              // 000000007898: 0B575712
	v_mul_f32_e32 v172, v18, v172                              // 00000000789C: 0B595912
	v_mul_f32_e32 v173, v18, v173                              // 0000000078A0: 0B5B5B12
	s_cmp_lt_i32 s87, 0                                        // 0000000078A4: BF048057
	s_cbranch_scc0 label_1A5E                                  // 0000000078A8: BF8404F3
	s_mov_b32 s75, 0x4000                                      // 0000000078AC: BECB00FF 00004000
	s_mul_i32 s56, s75, s78                                    // 0000000078B4: 92384E4B
	s_add_u32 s88, s56, s88                                    // 0000000078B8: 80585838
	s_addc_u32 s89, 0, s89                                     // 0000000078BC: 82595980
	s_sub_u32 s56, s81, s80                                    // 0000000078C0: 80B85051
	s_mul_i32 s56, s56, s75                                    // 0000000078C4: 92384B38
	s_mov_b32 s90, s56                                         // 0000000078C8: BEDA0038
	v_and_b32_e32 v26, 7, v0                                   // 0000000078CC: 26340087
	v_lshlrev_b32_e32 v22, 4, v26                              // 0000000078D0: 242C3484
	v_lshrrev_b32_e32 v26, 3, v0                               // 0000000078D4: 20340083
	v_mul_i32_i24_e32 v26, 0x400, v26                          // 0000000078D8: 0C3434FF 00000400
	s_mul_i32 s57, s75, s7                                     // 0000000078E0: 9239074B
	v_add_u32_e32 v26, s57, v26                                // 0000000078E4: 68343439
	v_add_u32_e32 v22, v22, v26                                // 0000000078E8: 682C3516
	v_mov_b32_e32 v23, v22                                     // 0000000078EC: 7E2E0316
	s_waitcnt vmcnt(0) lgkmcnt(0)                              // 0000000078F0: BF8C0070
	s_barrier                                                  // 0000000078F4: BF8A0000
	s_mul_i32 s75, 0x400, s65                                  // 0000000078F8: 924B41FF 00000400
	s_mul_i32 s76, s67, s75                                    // 000000007900: 924C4B43
	v_lshrrev_b32_e32 v26, 4, v0                               // 000000007904: 20340084
	v_mul_i32_i24_e32 v7, 0x48, v26                            // 000000007908: 0C0E34FF 00000048
	v_and_b32_e32 v26, 15, v0                                  // 000000007910: 2634008F
	v_mul_i32_i24_e32 v26, 2, v26                              // 000000007914: 0C343482
	v_add_u32_e32 v7, v26, v7                                  // 000000007918: 680E0F1A
	s_mul_i32 s56, s7, 0x480                                   // 00000000791C: 9238FF07 00000480
	v_add_u32_e32 v7, s56, v7                                  // 000000007924: 680E0E38
	v_lshlrev_b32_e32 v7, 2, v7                                // 000000007928: 240E0E82
	v_lshrrev_b32_e32 v26, 3, v0                               // 00000000792C: 20340083
	v_mul_i32_i24_e32 v6, 2, v26                               // 000000007930: 0C0C3482
	v_and_b32_e32 v26, 7, v0                                   // 000000007934: 26340087
	v_mul_i32_i24_e32 v26, 36, v26                             // 000000007938: 0C3434A4
	v_add_u32_e32 v6, v26, v6                                  // 00000000793C: 680C0D1A
	s_mul_i32 s56, s7, 0x480                                   // 000000007940: 9238FF07 00000480
	v_add_u32_e32 v6, s56, v6                                  // 000000007948: 680C0C38
	v_lshlrev_b32_e32 v6, 2, v6                                // 00000000794C: 240C0C82
	v_mov_b32_e32 v35, 0xffff0000                              // 000000007950: 7E4602FF FFFF0000
	v_mov_b32_e32 v36, 0x7fff0000                              // 000000007958: 7E4802FF 7FFF0000
	v_mov_b32_e32 v37, 0x7fff                                  // 000000007960: 7E4A02FF 00007FFF
	s_mul_i32 s56, 0, s76                                      // 000000007968: 92384C80
	v_add_u32_e64 v23, v23, s56                                // 00000000796C: D1340017 00007117
	v_mov_b32_e32 v30, v46                                     // 000000007974: 7E3C032E
	v_mov_b32_e32 v31, v50                                     // 000000007978: 7E3E0332
	v_mov_b32_e32 v32, v54                                     // 00000000797C: 7E400336
	v_mov_b32_e32 v33, v58                                     // 000000007980: 7E42033A
	v_cmp_u_f32_e64 s[38:39], v30, v30                         // 000000007984: D0480026 00023D1E
	v_add3_u32 v34, v30, v37, 1                                // 00000000798C: D1FF0022 02064B1E
	v_cndmask_b32_e64 v26, v34, v36, s[38:39]                  // 000000007994: D100001A 009A4922
	v_cmp_u_f32_e64 s[38:39], v31, v31                         // 00000000799C: D0480026 00023F1F
	v_add3_u32 v34, v31, v37, 1                                // 0000000079A4: D1FF0022 02064B1F
	v_cndmask_b32_e64 v27, v34, v36, s[38:39]                  // 0000000079AC: D100001B 009A4922
	v_perm_b32 v30, v27, v26, s52                              // 0000000079B4: D1ED001E 00D2351B
	v_cmp_u_f32_e64 s[38:39], v32, v32                         // 0000000079BC: D0480026 00024120
	v_add3_u32 v34, v32, v37, 1                                // 0000000079C4: D1FF0022 02064B20
	v_cndmask_b32_e64 v26, v34, v36, s[38:39]                  // 0000000079CC: D100001A 009A4922
	v_cmp_u_f32_e64 s[38:39], v33, v33                         // 0000000079D4: D0480026 00024321
	v_add3_u32 v34, v33, v37, 1                                // 0000000079DC: D1FF0022 02064B21
	v_cndmask_b32_e64 v27, v34, v36, s[38:39]                  // 0000000079E4: D100001B 009A4922
	v_perm_b32 v31, v27, v26, s52                              // 0000000079EC: D1ED001F 00D2351B
	ds_write_b64 v7, v[30:31]                                  // 0000000079F4: D89A0000 00001E07
	v_mov_b32_e32 v30, v47                                     // 0000000079FC: 7E3C032F
	v_mov_b32_e32 v31, v51                                     // 000000007A00: 7E3E0333
	v_mov_b32_e32 v32, v55                                     // 000000007A04: 7E400337
	v_mov_b32_e32 v33, v59                                     // 000000007A08: 7E42033B
	v_cmp_u_f32_e64 s[38:39], v30, v30                         // 000000007A0C: D0480026 00023D1E
	v_add3_u32 v34, v30, v37, 1                                // 000000007A14: D1FF0022 02064B1E
	v_cndmask_b32_e64 v26, v34, v36, s[38:39]                  // 000000007A1C: D100001A 009A4922
	v_cmp_u_f32_e64 s[38:39], v31, v31                         // 000000007A24: D0480026 00023F1F
	v_add3_u32 v34, v31, v37, 1                                // 000000007A2C: D1FF0022 02064B1F
	v_cndmask_b32_e64 v27, v34, v36, s[38:39]                  // 000000007A34: D100001B 009A4922
	v_perm_b32 v30, v27, v26, s52                              // 000000007A3C: D1ED001E 00D2351B
	v_cmp_u_f32_e64 s[38:39], v32, v32                         // 000000007A44: D0480026 00024120
	v_add3_u32 v34, v32, v37, 1                                // 000000007A4C: D1FF0022 02064B20
	v_cndmask_b32_e64 v26, v34, v36, s[38:39]                  // 000000007A54: D100001A 009A4922
	v_cmp_u_f32_e64 s[38:39], v33, v33                         // 000000007A5C: D0480026 00024321
	v_add3_u32 v34, v33, v37, 1                                // 000000007A64: D1FF0022 02064B21
	v_cndmask_b32_e64 v27, v34, v36, s[38:39]                  // 000000007A6C: D100001B 009A4922
	v_perm_b32 v31, v27, v26, s52                              // 000000007A74: D1ED001F 00D2351B
	ds_write_b64 v7, v[30:31] offset:1152                      // 000000007A7C: D89A0480 00001E07
	v_mov_b32_e32 v30, v48                                     // 000000007A84: 7E3C0330
	v_mov_b32_e32 v31, v52                                     // 000000007A88: 7E3E0334
	v_mov_b32_e32 v32, v56                                     // 000000007A8C: 7E400338
	v_mov_b32_e32 v33, v60                                     // 000000007A90: 7E42033C
	v_cmp_u_f32_e64 s[38:39], v30, v30                         // 000000007A94: D0480026 00023D1E
	v_add3_u32 v34, v30, v37, 1                                // 000000007A9C: D1FF0022 02064B1E
	v_cndmask_b32_e64 v26, v34, v36, s[38:39]                  // 000000007AA4: D100001A 009A4922
	v_cmp_u_f32_e64 s[38:39], v31, v31                         // 000000007AAC: D0480026 00023F1F
	v_add3_u32 v34, v31, v37, 1                                // 000000007AB4: D1FF0022 02064B1F
	v_cndmask_b32_e64 v27, v34, v36, s[38:39]                  // 000000007ABC: D100001B 009A4922
	v_perm_b32 v30, v27, v26, s52                              // 000000007AC4: D1ED001E 00D2351B
	v_cmp_u_f32_e64 s[38:39], v32, v32                         // 000000007ACC: D0480026 00024120
	v_add3_u32 v34, v32, v37, 1                                // 000000007AD4: D1FF0022 02064B20
	v_cndmask_b32_e64 v26, v34, v36, s[38:39]                  // 000000007ADC: D100001A 009A4922
	v_cmp_u_f32_e64 s[38:39], v33, v33                         // 000000007AE4: D0480026 00024321
	v_add3_u32 v34, v33, v37, 1                                // 000000007AEC: D1FF0022 02064B21
	v_cndmask_b32_e64 v27, v34, v36, s[38:39]                  // 000000007AF4: D100001B 009A4922
	v_perm_b32 v31, v27, v26, s52                              // 000000007AFC: D1ED001F 00D2351B
	ds_write_b64 v7, v[30:31] offset:144                       // 000000007B04: D89A0090 00001E07
	v_mov_b32_e32 v30, v49                                     // 000000007B0C: 7E3C0331
	v_mov_b32_e32 v31, v53                                     // 000000007B10: 7E3E0335
	v_mov_b32_e32 v32, v57                                     // 000000007B14: 7E400339
	v_mov_b32_e32 v33, v61                                     // 000000007B18: 7E42033D
	v_cmp_u_f32_e64 s[38:39], v30, v30                         // 000000007B1C: D0480026 00023D1E
	v_add3_u32 v34, v30, v37, 1                                // 000000007B24: D1FF0022 02064B1E
	v_cndmask_b32_e64 v26, v34, v36, s[38:39]                  // 000000007B2C: D100001A 009A4922
	v_cmp_u_f32_e64 s[38:39], v31, v31                         // 000000007B34: D0480026 00023F1F
	v_add3_u32 v34, v31, v37, 1                                // 000000007B3C: D1FF0022 02064B1F
	v_cndmask_b32_e64 v27, v34, v36, s[38:39]                  // 000000007B44: D100001B 009A4922
	v_perm_b32 v30, v27, v26, s52                              // 000000007B4C: D1ED001E 00D2351B
	v_cmp_u_f32_e64 s[38:39], v32, v32                         // 000000007B54: D0480026 00024120
	v_add3_u32 v34, v32, v37, 1                                // 000000007B5C: D1FF0022 02064B20
	v_cndmask_b32_e64 v26, v34, v36, s[38:39]                  // 000000007B64: D100001A 009A4922
	v_cmp_u_f32_e64 s[38:39], v33, v33                         // 000000007B6C: D0480026 00024321
	v_add3_u32 v34, v33, v37, 1                                // 000000007B74: D1FF0022 02064B21
	v_cndmask_b32_e64 v27, v34, v36, s[38:39]                  // 000000007B7C: D100001B 009A4922
	v_perm_b32 v31, v27, v26, s52                              // 000000007B84: D1ED001F 00D2351B
	ds_write_b64 v7, v[30:31] offset:1296                      // 000000007B8C: D89A0510 00001E07
	v_mov_b32_e32 v30, v62                                     // 000000007B94: 7E3C033E
	v_mov_b32_e32 v31, v66                                     // 000000007B98: 7E3E0342
	v_mov_b32_e32 v32, v70                                     // 000000007B9C: 7E400346
	v_mov_b32_e32 v33, v74                                     // 000000007BA0: 7E42034A
	v_cmp_u_f32_e64 s[38:39], v30, v30                         // 000000007BA4: D0480026 00023D1E
	v_add3_u32 v34, v30, v37, 1                                // 000000007BAC: D1FF0022 02064B1E
	v_cndmask_b32_e64 v26, v34, v36, s[38:39]                  // 000000007BB4: D100001A 009A4922
	v_cmp_u_f32_e64 s[38:39], v31, v31                         // 000000007BBC: D0480026 00023F1F
	v_add3_u32 v34, v31, v37, 1                                // 000000007BC4: D1FF0022 02064B1F
	v_cndmask_b32_e64 v27, v34, v36, s[38:39]                  // 000000007BCC: D100001B 009A4922
	v_perm_b32 v30, v27, v26, s52                              // 000000007BD4: D1ED001E 00D2351B
	v_cmp_u_f32_e64 s[38:39], v32, v32                         // 000000007BDC: D0480026 00024120
	v_add3_u32 v34, v32, v37, 1                                // 000000007BE4: D1FF0022 02064B20
	v_cndmask_b32_e64 v26, v34, v36, s[38:39]                  // 000000007BEC: D100001A 009A4922
	v_cmp_u_f32_e64 s[38:39], v33, v33                         // 000000007BF4: D0480026 00024321
	v_add3_u32 v34, v33, v37, 1                                // 000000007BFC: D1FF0022 02064B21
	v_cndmask_b32_e64 v27, v34, v36, s[38:39]                  // 000000007C04: D100001B 009A4922
	v_perm_b32 v31, v27, v26, s52                              // 000000007C0C: D1ED001F 00D2351B
	ds_write_b64 v7, v[30:31] offset:2304                      // 000000007C14: D89A0900 00001E07
	v_mov_b32_e32 v30, v63                                     // 000000007C1C: 7E3C033F
	v_mov_b32_e32 v31, v67                                     // 000000007C20: 7E3E0343
	v_mov_b32_e32 v32, v71                                     // 000000007C24: 7E400347
	v_mov_b32_e32 v33, v75                                     // 000000007C28: 7E42034B
	v_cmp_u_f32_e64 s[38:39], v30, v30                         // 000000007C2C: D0480026 00023D1E
	v_add3_u32 v34, v30, v37, 1                                // 000000007C34: D1FF0022 02064B1E
	v_cndmask_b32_e64 v26, v34, v36, s[38:39]                  // 000000007C3C: D100001A 009A4922
	v_cmp_u_f32_e64 s[38:39], v31, v31                         // 000000007C44: D0480026 00023F1F
	v_add3_u32 v34, v31, v37, 1                                // 000000007C4C: D1FF0022 02064B1F
	v_cndmask_b32_e64 v27, v34, v36, s[38:39]                  // 000000007C54: D100001B 009A4922
	v_perm_b32 v30, v27, v26, s52                              // 000000007C5C: D1ED001E 00D2351B
	v_cmp_u_f32_e64 s[38:39], v32, v32                         // 000000007C64: D0480026 00024120
	v_add3_u32 v34, v32, v37, 1                                // 000000007C6C: D1FF0022 02064B20
	v_cndmask_b32_e64 v26, v34, v36, s[38:39]                  // 000000007C74: D100001A 009A4922
	v_cmp_u_f32_e64 s[38:39], v33, v33                         // 000000007C7C: D0480026 00024321
	v_add3_u32 v34, v33, v37, 1                                // 000000007C84: D1FF0022 02064B21
	v_cndmask_b32_e64 v27, v34, v36, s[38:39]                  // 000000007C8C: D100001B 009A4922
	v_perm_b32 v31, v27, v26, s52                              // 000000007C94: D1ED001F 00D2351B
	ds_write_b64 v7, v[30:31] offset:3456                      // 000000007C9C: D89A0D80 00001E07
	v_mov_b32_e32 v30, v64                                     // 000000007CA4: 7E3C0340
	v_mov_b32_e32 v31, v68                                     // 000000007CA8: 7E3E0344
	v_mov_b32_e32 v32, v72                                     // 000000007CAC: 7E400348
	v_mov_b32_e32 v33, v76                                     // 000000007CB0: 7E42034C
	v_cmp_u_f32_e64 s[38:39], v30, v30                         // 000000007CB4: D0480026 00023D1E
	v_add3_u32 v34, v30, v37, 1                                // 000000007CBC: D1FF0022 02064B1E
	v_cndmask_b32_e64 v26, v34, v36, s[38:39]                  // 000000007CC4: D100001A 009A4922
	v_cmp_u_f32_e64 s[38:39], v31, v31                         // 000000007CCC: D0480026 00023F1F
	v_add3_u32 v34, v31, v37, 1                                // 000000007CD4: D1FF0022 02064B1F
	v_cndmask_b32_e64 v27, v34, v36, s[38:39]                  // 000000007CDC: D100001B 009A4922
	v_perm_b32 v30, v27, v26, s52                              // 000000007CE4: D1ED001E 00D2351B
	v_cmp_u_f32_e64 s[38:39], v32, v32                         // 000000007CEC: D0480026 00024120
	v_add3_u32 v34, v32, v37, 1                                // 000000007CF4: D1FF0022 02064B20
	v_cndmask_b32_e64 v26, v34, v36, s[38:39]                  // 000000007CFC: D100001A 009A4922
	v_cmp_u_f32_e64 s[38:39], v33, v33                         // 000000007D04: D0480026 00024321
	v_add3_u32 v34, v33, v37, 1                                // 000000007D0C: D1FF0022 02064B21
	v_cndmask_b32_e64 v27, v34, v36, s[38:39]                  // 000000007D14: D100001B 009A4922
	v_perm_b32 v31, v27, v26, s52                              // 000000007D1C: D1ED001F 00D2351B
	ds_write_b64 v7, v[30:31] offset:2448                      // 000000007D24: D89A0990 00001E07
	v_mov_b32_e32 v30, v65                                     // 000000007D2C: 7E3C0341
	v_mov_b32_e32 v31, v69                                     // 000000007D30: 7E3E0345
	v_mov_b32_e32 v32, v73                                     // 000000007D34: 7E400349
	v_mov_b32_e32 v33, v77                                     // 000000007D38: 7E42034D
	v_cmp_u_f32_e64 s[38:39], v30, v30                         // 000000007D3C: D0480026 00023D1E
	v_add3_u32 v34, v30, v37, 1                                // 000000007D44: D1FF0022 02064B1E
	v_cndmask_b32_e64 v26, v34, v36, s[38:39]                  // 000000007D4C: D100001A 009A4922
	v_cmp_u_f32_e64 s[38:39], v31, v31                         // 000000007D54: D0480026 00023F1F
	v_add3_u32 v34, v31, v37, 1                                // 000000007D5C: D1FF0022 02064B1F
	v_cndmask_b32_e64 v27, v34, v36, s[38:39]                  // 000000007D64: D100001B 009A4922
	v_perm_b32 v30, v27, v26, s52                              // 000000007D6C: D1ED001E 00D2351B
	v_cmp_u_f32_e64 s[38:39], v32, v32                         // 000000007D74: D0480026 00024120
	v_add3_u32 v34, v32, v37, 1                                // 000000007D7C: D1FF0022 02064B20
	v_cndmask_b32_e64 v26, v34, v36, s[38:39]                  // 000000007D84: D100001A 009A4922
	v_cmp_u_f32_e64 s[38:39], v33, v33                         // 000000007D8C: D0480026 00024321
	v_add3_u32 v34, v33, v37, 1                                // 000000007D94: D1FF0022 02064B21
	v_cndmask_b32_e64 v27, v34, v36, s[38:39]                  // 000000007D9C: D100001B 009A4922
	v_perm_b32 v31, v27, v26, s52                              // 000000007DA4: D1ED001F 00D2351B
	ds_write_b64 v7, v[30:31] offset:3600                      // 000000007DAC: D89A0E10 00001E07
	s_waitcnt lgkmcnt(4)                                       // 000000007DB4: BF8CC47F
	ds_read_b64 v[46:47], v6                                   // 000000007DB8: D8EC0000 2E000006
	ds_read_b64 v[50:51], v6 offset:64                         // 000000007DC0: D8EC0040 32000006
	ds_read_b64 v[48:49], v6 offset:1152                       // 000000007DC8: D8EC0480 30000006
	ds_read_b64 v[52:53], v6 offset:1216                       // 000000007DD0: D8EC04C0 34000006
	s_waitcnt lgkmcnt(4)                                       // 000000007DD8: BF8CC47F
	ds_read_b64 v[54:55], v6 offset:2304                       // 000000007DDC: D8EC0900 36000006
	ds_read_b64 v[58:59], v6 offset:2368                       // 000000007DE4: D8EC0940 3A000006
	ds_read_b64 v[56:57], v6 offset:3456                       // 000000007DEC: D8EC0D80 38000006
	ds_read_b64 v[60:61], v6 offset:3520                       // 000000007DF4: D8EC0DC0 3C000006
	s_waitcnt lgkmcnt(0)                                       // 000000007DFC: BF8CC07F
	v_mov_b32_e32 v22, v23                                     // 000000007E00: 7E2C0317
	buffer_store_dwordx4 v[46:49], v22, s[88:91], 0 offen      // 000000007E04: E07C1000 80162E16
	buffer_store_dwordx4 v[54:57], v22, s[88:91], 0 offen offset:128// 000000007E0C: E07C1080 80163616
	v_add_u32_e32 v22, 0x2000, v22                             // 000000007E14: 682C2CFF 00002000
	buffer_store_dwordx4 v[50:53], v22, s[88:91], 0 offen      // 000000007E1C: E07C1000 80163216
	buffer_store_dwordx4 v[58:61], v22, s[88:91], 0 offen offset:128// 000000007E24: E07C1080 80163A16
	v_add_u32_e32 v22, 0x2000, v22                             // 000000007E2C: 682C2CFF 00002000
	v_mov_b32_e32 v30, v78                                     // 000000007E34: 7E3C034E
	v_mov_b32_e32 v31, v82                                     // 000000007E38: 7E3E0352
	v_mov_b32_e32 v32, v86                                     // 000000007E3C: 7E400356
	v_mov_b32_e32 v33, v90                                     // 000000007E40: 7E42035A
	v_cmp_u_f32_e64 s[38:39], v30, v30                         // 000000007E44: D0480026 00023D1E
	v_add3_u32 v34, v30, v37, 1                                // 000000007E4C: D1FF0022 02064B1E
	v_cndmask_b32_e64 v26, v34, v36, s[38:39]                  // 000000007E54: D100001A 009A4922
	v_cmp_u_f32_e64 s[38:39], v31, v31                         // 000000007E5C: D0480026 00023F1F
	v_add3_u32 v34, v31, v37, 1                                // 000000007E64: D1FF0022 02064B1F
	v_cndmask_b32_e64 v27, v34, v36, s[38:39]                  // 000000007E6C: D100001B 009A4922
	v_perm_b32 v30, v27, v26, s52                              // 000000007E74: D1ED001E 00D2351B
	v_cmp_u_f32_e64 s[38:39], v32, v32                         // 000000007E7C: D0480026 00024120
	v_add3_u32 v34, v32, v37, 1                                // 000000007E84: D1FF0022 02064B20
	v_cndmask_b32_e64 v26, v34, v36, s[38:39]                  // 000000007E8C: D100001A 009A4922
	v_cmp_u_f32_e64 s[38:39], v33, v33                         // 000000007E94: D0480026 00024321
	v_add3_u32 v34, v33, v37, 1                                // 000000007E9C: D1FF0022 02064B21
	v_cndmask_b32_e64 v27, v34, v36, s[38:39]                  // 000000007EA4: D100001B 009A4922
	v_perm_b32 v31, v27, v26, s52                              // 000000007EAC: D1ED001F 00D2351B
	ds_write_b64 v7, v[30:31]                                  // 000000007EB4: D89A0000 00001E07
	v_mov_b32_e32 v30, v79                                     // 000000007EBC: 7E3C034F
	v_mov_b32_e32 v31, v83                                     // 000000007EC0: 7E3E0353
	v_mov_b32_e32 v32, v87                                     // 000000007EC4: 7E400357
	v_mov_b32_e32 v33, v91                                     // 000000007EC8: 7E42035B
	v_cmp_u_f32_e64 s[38:39], v30, v30                         // 000000007ECC: D0480026 00023D1E
	v_add3_u32 v34, v30, v37, 1                                // 000000007ED4: D1FF0022 02064B1E
	v_cndmask_b32_e64 v26, v34, v36, s[38:39]                  // 000000007EDC: D100001A 009A4922
	v_cmp_u_f32_e64 s[38:39], v31, v31                         // 000000007EE4: D0480026 00023F1F
	v_add3_u32 v34, v31, v37, 1                                // 000000007EEC: D1FF0022 02064B1F
	v_cndmask_b32_e64 v27, v34, v36, s[38:39]                  // 000000007EF4: D100001B 009A4922
	v_perm_b32 v30, v27, v26, s52                              // 000000007EFC: D1ED001E 00D2351B
	v_cmp_u_f32_e64 s[38:39], v32, v32                         // 000000007F04: D0480026 00024120
	v_add3_u32 v34, v32, v37, 1                                // 000000007F0C: D1FF0022 02064B20
	v_cndmask_b32_e64 v26, v34, v36, s[38:39]                  // 000000007F14: D100001A 009A4922
	v_cmp_u_f32_e64 s[38:39], v33, v33                         // 000000007F1C: D0480026 00024321
	v_add3_u32 v34, v33, v37, 1                                // 000000007F24: D1FF0022 02064B21
	v_cndmask_b32_e64 v27, v34, v36, s[38:39]                  // 000000007F2C: D100001B 009A4922
	v_perm_b32 v31, v27, v26, s52                              // 000000007F34: D1ED001F 00D2351B
	ds_write_b64 v7, v[30:31] offset:1152                      // 000000007F3C: D89A0480 00001E07
	v_mov_b32_e32 v30, v80                                     // 000000007F44: 7E3C0350
	v_mov_b32_e32 v31, v84                                     // 000000007F48: 7E3E0354
	v_mov_b32_e32 v32, v88                                     // 000000007F4C: 7E400358
	v_mov_b32_e32 v33, v92                                     // 000000007F50: 7E42035C
	v_cmp_u_f32_e64 s[38:39], v30, v30                         // 000000007F54: D0480026 00023D1E
	v_add3_u32 v34, v30, v37, 1                                // 000000007F5C: D1FF0022 02064B1E
	v_cndmask_b32_e64 v26, v34, v36, s[38:39]                  // 000000007F64: D100001A 009A4922
	v_cmp_u_f32_e64 s[38:39], v31, v31                         // 000000007F6C: D0480026 00023F1F
	v_add3_u32 v34, v31, v37, 1                                // 000000007F74: D1FF0022 02064B1F
	v_cndmask_b32_e64 v27, v34, v36, s[38:39]                  // 000000007F7C: D100001B 009A4922
	v_perm_b32 v30, v27, v26, s52                              // 000000007F84: D1ED001E 00D2351B
	v_cmp_u_f32_e64 s[38:39], v32, v32                         // 000000007F8C: D0480026 00024120
	v_add3_u32 v34, v32, v37, 1                                // 000000007F94: D1FF0022 02064B20
	v_cndmask_b32_e64 v26, v34, v36, s[38:39]                  // 000000007F9C: D100001A 009A4922
	v_cmp_u_f32_e64 s[38:39], v33, v33                         // 000000007FA4: D0480026 00024321
	v_add3_u32 v34, v33, v37, 1                                // 000000007FAC: D1FF0022 02064B21
	v_cndmask_b32_e64 v27, v34, v36, s[38:39]                  // 000000007FB4: D100001B 009A4922
	v_perm_b32 v31, v27, v26, s52                              // 000000007FBC: D1ED001F 00D2351B
	ds_write_b64 v7, v[30:31] offset:144                       // 000000007FC4: D89A0090 00001E07
	v_mov_b32_e32 v30, v81                                     // 000000007FCC: 7E3C0351
	v_mov_b32_e32 v31, v85                                     // 000000007FD0: 7E3E0355
	v_mov_b32_e32 v32, v89                                     // 000000007FD4: 7E400359
	v_mov_b32_e32 v33, v93                                     // 000000007FD8: 7E42035D
	v_cmp_u_f32_e64 s[38:39], v30, v30                         // 000000007FDC: D0480026 00023D1E
	v_add3_u32 v34, v30, v37, 1                                // 000000007FE4: D1FF0022 02064B1E
	v_cndmask_b32_e64 v26, v34, v36, s[38:39]                  // 000000007FEC: D100001A 009A4922
	v_cmp_u_f32_e64 s[38:39], v31, v31                         // 000000007FF4: D0480026 00023F1F
	v_add3_u32 v34, v31, v37, 1                                // 000000007FFC: D1FF0022 02064B1F
	v_cndmask_b32_e64 v27, v34, v36, s[38:39]                  // 000000008004: D100001B 009A4922
	v_perm_b32 v30, v27, v26, s52                              // 00000000800C: D1ED001E 00D2351B
	v_cmp_u_f32_e64 s[38:39], v32, v32                         // 000000008014: D0480026 00024120
	v_add3_u32 v34, v32, v37, 1                                // 00000000801C: D1FF0022 02064B20
	v_cndmask_b32_e64 v26, v34, v36, s[38:39]                  // 000000008024: D100001A 009A4922
	v_cmp_u_f32_e64 s[38:39], v33, v33                         // 00000000802C: D0480026 00024321
	v_add3_u32 v34, v33, v37, 1                                // 000000008034: D1FF0022 02064B21
	v_cndmask_b32_e64 v27, v34, v36, s[38:39]                  // 00000000803C: D100001B 009A4922
	v_perm_b32 v31, v27, v26, s52                              // 000000008044: D1ED001F 00D2351B
	ds_write_b64 v7, v[30:31] offset:1296                      // 00000000804C: D89A0510 00001E07
	v_mov_b32_e32 v30, v94                                     // 000000008054: 7E3C035E
	v_mov_b32_e32 v31, v98                                     // 000000008058: 7E3E0362
	v_mov_b32_e32 v32, v102                                    // 00000000805C: 7E400366
	v_mov_b32_e32 v33, v106                                    // 000000008060: 7E42036A
	v_cmp_u_f32_e64 s[38:39], v30, v30                         // 000000008064: D0480026 00023D1E
	v_add3_u32 v34, v30, v37, 1                                // 00000000806C: D1FF0022 02064B1E
	v_cndmask_b32_e64 v26, v34, v36, s[38:39]                  // 000000008074: D100001A 009A4922
	v_cmp_u_f32_e64 s[38:39], v31, v31                         // 00000000807C: D0480026 00023F1F
	v_add3_u32 v34, v31, v37, 1                                // 000000008084: D1FF0022 02064B1F
	v_cndmask_b32_e64 v27, v34, v36, s[38:39]                  // 00000000808C: D100001B 009A4922
	v_perm_b32 v30, v27, v26, s52                              // 000000008094: D1ED001E 00D2351B
	v_cmp_u_f32_e64 s[38:39], v32, v32                         // 00000000809C: D0480026 00024120
	v_add3_u32 v34, v32, v37, 1                                // 0000000080A4: D1FF0022 02064B20
	v_cndmask_b32_e64 v26, v34, v36, s[38:39]                  // 0000000080AC: D100001A 009A4922
	v_cmp_u_f32_e64 s[38:39], v33, v33                         // 0000000080B4: D0480026 00024321
	v_add3_u32 v34, v33, v37, 1                                // 0000000080BC: D1FF0022 02064B21
	v_cndmask_b32_e64 v27, v34, v36, s[38:39]                  // 0000000080C4: D100001B 009A4922
	v_perm_b32 v31, v27, v26, s52                              // 0000000080CC: D1ED001F 00D2351B
	ds_write_b64 v7, v[30:31] offset:2304                      // 0000000080D4: D89A0900 00001E07
	v_mov_b32_e32 v30, v95                                     // 0000000080DC: 7E3C035F
	v_mov_b32_e32 v31, v99                                     // 0000000080E0: 7E3E0363
	v_mov_b32_e32 v32, v103                                    // 0000000080E4: 7E400367
	v_mov_b32_e32 v33, v107                                    // 0000000080E8: 7E42036B
	v_cmp_u_f32_e64 s[38:39], v30, v30                         // 0000000080EC: D0480026 00023D1E
	v_add3_u32 v34, v30, v37, 1                                // 0000000080F4: D1FF0022 02064B1E
	v_cndmask_b32_e64 v26, v34, v36, s[38:39]                  // 0000000080FC: D100001A 009A4922
	v_cmp_u_f32_e64 s[38:39], v31, v31                         // 000000008104: D0480026 00023F1F
	v_add3_u32 v34, v31, v37, 1                                // 00000000810C: D1FF0022 02064B1F
	v_cndmask_b32_e64 v27, v34, v36, s[38:39]                  // 000000008114: D100001B 009A4922
	v_perm_b32 v30, v27, v26, s52                              // 00000000811C: D1ED001E 00D2351B
	v_cmp_u_f32_e64 s[38:39], v32, v32                         // 000000008124: D0480026 00024120
	v_add3_u32 v34, v32, v37, 1                                // 00000000812C: D1FF0022 02064B20
	v_cndmask_b32_e64 v26, v34, v36, s[38:39]                  // 000000008134: D100001A 009A4922
	v_cmp_u_f32_e64 s[38:39], v33, v33                         // 00000000813C: D0480026 00024321
	v_add3_u32 v34, v33, v37, 1                                // 000000008144: D1FF0022 02064B21
	v_cndmask_b32_e64 v27, v34, v36, s[38:39]                  // 00000000814C: D100001B 009A4922
	v_perm_b32 v31, v27, v26, s52                              // 000000008154: D1ED001F 00D2351B
	ds_write_b64 v7, v[30:31] offset:3456                      // 00000000815C: D89A0D80 00001E07
	v_mov_b32_e32 v30, v96                                     // 000000008164: 7E3C0360
	v_mov_b32_e32 v31, v100                                    // 000000008168: 7E3E0364
	v_mov_b32_e32 v32, v104                                    // 00000000816C: 7E400368
	v_mov_b32_e32 v33, v108                                    // 000000008170: 7E42036C
	v_cmp_u_f32_e64 s[38:39], v30, v30                         // 000000008174: D0480026 00023D1E
	v_add3_u32 v34, v30, v37, 1                                // 00000000817C: D1FF0022 02064B1E
	v_cndmask_b32_e64 v26, v34, v36, s[38:39]                  // 000000008184: D100001A 009A4922
	v_cmp_u_f32_e64 s[38:39], v31, v31                         // 00000000818C: D0480026 00023F1F
	v_add3_u32 v34, v31, v37, 1                                // 000000008194: D1FF0022 02064B1F
	v_cndmask_b32_e64 v27, v34, v36, s[38:39]                  // 00000000819C: D100001B 009A4922
	v_perm_b32 v30, v27, v26, s52                              // 0000000081A4: D1ED001E 00D2351B
	v_cmp_u_f32_e64 s[38:39], v32, v32                         // 0000000081AC: D0480026 00024120
	v_add3_u32 v34, v32, v37, 1                                // 0000000081B4: D1FF0022 02064B20
	v_cndmask_b32_e64 v26, v34, v36, s[38:39]                  // 0000000081BC: D100001A 009A4922
	v_cmp_u_f32_e64 s[38:39], v33, v33                         // 0000000081C4: D0480026 00024321
	v_add3_u32 v34, v33, v37, 1                                // 0000000081CC: D1FF0022 02064B21
	v_cndmask_b32_e64 v27, v34, v36, s[38:39]                  // 0000000081D4: D100001B 009A4922
	v_perm_b32 v31, v27, v26, s52                              // 0000000081DC: D1ED001F 00D2351B
	ds_write_b64 v7, v[30:31] offset:2448                      // 0000000081E4: D89A0990 00001E07
	v_mov_b32_e32 v30, v97                                     // 0000000081EC: 7E3C0361
	v_mov_b32_e32 v31, v101                                    // 0000000081F0: 7E3E0365
	v_mov_b32_e32 v32, v105                                    // 0000000081F4: 7E400369
	v_mov_b32_e32 v33, v109                                    // 0000000081F8: 7E42036D
	v_cmp_u_f32_e64 s[38:39], v30, v30                         // 0000000081FC: D0480026 00023D1E
	v_add3_u32 v34, v30, v37, 1                                // 000000008204: D1FF0022 02064B1E
	v_cndmask_b32_e64 v26, v34, v36, s[38:39]                  // 00000000820C: D100001A 009A4922
	v_cmp_u_f32_e64 s[38:39], v31, v31                         // 000000008214: D0480026 00023F1F
	v_add3_u32 v34, v31, v37, 1                                // 00000000821C: D1FF0022 02064B1F
	v_cndmask_b32_e64 v27, v34, v36, s[38:39]                  // 000000008224: D100001B 009A4922
	v_perm_b32 v30, v27, v26, s52                              // 00000000822C: D1ED001E 00D2351B
	v_cmp_u_f32_e64 s[38:39], v32, v32                         // 000000008234: D0480026 00024120
	v_add3_u32 v34, v32, v37, 1                                // 00000000823C: D1FF0022 02064B20
	v_cndmask_b32_e64 v26, v34, v36, s[38:39]                  // 000000008244: D100001A 009A4922
	v_cmp_u_f32_e64 s[38:39], v33, v33                         // 00000000824C: D0480026 00024321
	v_add3_u32 v34, v33, v37, 1                                // 000000008254: D1FF0022 02064B21
	v_cndmask_b32_e64 v27, v34, v36, s[38:39]                  // 00000000825C: D100001B 009A4922
	v_perm_b32 v31, v27, v26, s52                              // 000000008264: D1ED001F 00D2351B
	ds_write_b64 v7, v[30:31] offset:3600                      // 00000000826C: D89A0E10 00001E07
	s_waitcnt lgkmcnt(4)                                       // 000000008274: BF8CC47F
	ds_read_b64 v[46:47], v6                                   // 000000008278: D8EC0000 2E000006
	ds_read_b64 v[50:51], v6 offset:64                         // 000000008280: D8EC0040 32000006
	ds_read_b64 v[48:49], v6 offset:1152                       // 000000008288: D8EC0480 30000006
	ds_read_b64 v[52:53], v6 offset:1216                       // 000000008290: D8EC04C0 34000006
	s_waitcnt lgkmcnt(4)                                       // 000000008298: BF8CC47F
	ds_read_b64 v[54:55], v6 offset:2304                       // 00000000829C: D8EC0900 36000006
	ds_read_b64 v[58:59], v6 offset:2368                       // 0000000082A4: D8EC0940 3A000006
	ds_read_b64 v[56:57], v6 offset:3456                       // 0000000082AC: D8EC0D80 38000006
	ds_read_b64 v[60:61], v6 offset:3520                       // 0000000082B4: D8EC0DC0 3C000006
	s_waitcnt lgkmcnt(0)                                       // 0000000082BC: BF8CC07F
	v_mov_b32_e32 v22, v23                                     // 0000000082C0: 7E2C0317
	buffer_store_dwordx4 v[46:49], v22, s[88:91], 0 offen offset:256// 0000000082C4: E07C1100 80162E16
	buffer_store_dwordx4 v[54:57], v22, s[88:91], 0 offen offset:384// 0000000082CC: E07C1180 80163616
	v_add_u32_e32 v22, 0x2000, v22                             // 0000000082D4: 682C2CFF 00002000
	buffer_store_dwordx4 v[50:53], v22, s[88:91], 0 offen offset:256// 0000000082DC: E07C1100 80163216
	buffer_store_dwordx4 v[58:61], v22, s[88:91], 0 offen offset:384// 0000000082E4: E07C1180 80163A16
	v_add_u32_e32 v22, 0x2000, v22                             // 0000000082EC: 682C2CFF 00002000
	v_mov_b32_e32 v30, v110                                    // 0000000082F4: 7E3C036E
	v_mov_b32_e32 v31, v114                                    // 0000000082F8: 7E3E0372
	v_mov_b32_e32 v32, v118                                    // 0000000082FC: 7E400376
	v_mov_b32_e32 v33, v122                                    // 000000008300: 7E42037A
	v_cmp_u_f32_e64 s[38:39], v30, v30                         // 000000008304: D0480026 00023D1E
	v_add3_u32 v34, v30, v37, 1                                // 00000000830C: D1FF0022 02064B1E
	v_cndmask_b32_e64 v26, v34, v36, s[38:39]                  // 000000008314: D100001A 009A4922
	v_cmp_u_f32_e64 s[38:39], v31, v31                         // 00000000831C: D0480026 00023F1F
	v_add3_u32 v34, v31, v37, 1                                // 000000008324: D1FF0022 02064B1F
	v_cndmask_b32_e64 v27, v34, v36, s[38:39]                  // 00000000832C: D100001B 009A4922
	v_perm_b32 v30, v27, v26, s52                              // 000000008334: D1ED001E 00D2351B
	v_cmp_u_f32_e64 s[38:39], v32, v32                         // 00000000833C: D0480026 00024120
	v_add3_u32 v34, v32, v37, 1                                // 000000008344: D1FF0022 02064B20
	v_cndmask_b32_e64 v26, v34, v36, s[38:39]                  // 00000000834C: D100001A 009A4922
	v_cmp_u_f32_e64 s[38:39], v33, v33                         // 000000008354: D0480026 00024321
	v_add3_u32 v34, v33, v37, 1                                // 00000000835C: D1FF0022 02064B21
	v_cndmask_b32_e64 v27, v34, v36, s[38:39]                  // 000000008364: D100001B 009A4922
	v_perm_b32 v31, v27, v26, s52                              // 00000000836C: D1ED001F 00D2351B
	ds_write_b64 v7, v[30:31]                                  // 000000008374: D89A0000 00001E07
	v_mov_b32_e32 v30, v111                                    // 00000000837C: 7E3C036F
	v_mov_b32_e32 v31, v115                                    // 000000008380: 7E3E0373
	v_mov_b32_e32 v32, v119                                    // 000000008384: 7E400377
	v_mov_b32_e32 v33, v123                                    // 000000008388: 7E42037B
	v_cmp_u_f32_e64 s[38:39], v30, v30                         // 00000000838C: D0480026 00023D1E
	v_add3_u32 v34, v30, v37, 1                                // 000000008394: D1FF0022 02064B1E
	v_cndmask_b32_e64 v26, v34, v36, s[38:39]                  // 00000000839C: D100001A 009A4922
	v_cmp_u_f32_e64 s[38:39], v31, v31                         // 0000000083A4: D0480026 00023F1F
	v_add3_u32 v34, v31, v37, 1                                // 0000000083AC: D1FF0022 02064B1F
	v_cndmask_b32_e64 v27, v34, v36, s[38:39]                  // 0000000083B4: D100001B 009A4922
	v_perm_b32 v30, v27, v26, s52                              // 0000000083BC: D1ED001E 00D2351B
	v_cmp_u_f32_e64 s[38:39], v32, v32                         // 0000000083C4: D0480026 00024120
	v_add3_u32 v34, v32, v37, 1                                // 0000000083CC: D1FF0022 02064B20
	v_cndmask_b32_e64 v26, v34, v36, s[38:39]                  // 0000000083D4: D100001A 009A4922
	v_cmp_u_f32_e64 s[38:39], v33, v33                         // 0000000083DC: D0480026 00024321
	v_add3_u32 v34, v33, v37, 1                                // 0000000083E4: D1FF0022 02064B21
	v_cndmask_b32_e64 v27, v34, v36, s[38:39]                  // 0000000083EC: D100001B 009A4922
	v_perm_b32 v31, v27, v26, s52                              // 0000000083F4: D1ED001F 00D2351B
	ds_write_b64 v7, v[30:31] offset:1152                      // 0000000083FC: D89A0480 00001E07
	v_mov_b32_e32 v30, v112                                    // 000000008404: 7E3C0370
	v_mov_b32_e32 v31, v116                                    // 000000008408: 7E3E0374
	v_mov_b32_e32 v32, v120                                    // 00000000840C: 7E400378
	v_mov_b32_e32 v33, v124                                    // 000000008410: 7E42037C
	v_cmp_u_f32_e64 s[38:39], v30, v30                         // 000000008414: D0480026 00023D1E
	v_add3_u32 v34, v30, v37, 1                                // 00000000841C: D1FF0022 02064B1E
	v_cndmask_b32_e64 v26, v34, v36, s[38:39]                  // 000000008424: D100001A 009A4922
	v_cmp_u_f32_e64 s[38:39], v31, v31                         // 00000000842C: D0480026 00023F1F
	v_add3_u32 v34, v31, v37, 1                                // 000000008434: D1FF0022 02064B1F
	v_cndmask_b32_e64 v27, v34, v36, s[38:39]                  // 00000000843C: D100001B 009A4922
	v_perm_b32 v30, v27, v26, s52                              // 000000008444: D1ED001E 00D2351B
	v_cmp_u_f32_e64 s[38:39], v32, v32                         // 00000000844C: D0480026 00024120
	v_add3_u32 v34, v32, v37, 1                                // 000000008454: D1FF0022 02064B20
	v_cndmask_b32_e64 v26, v34, v36, s[38:39]                  // 00000000845C: D100001A 009A4922
	v_cmp_u_f32_e64 s[38:39], v33, v33                         // 000000008464: D0480026 00024321
	v_add3_u32 v34, v33, v37, 1                                // 00000000846C: D1FF0022 02064B21
	v_cndmask_b32_e64 v27, v34, v36, s[38:39]                  // 000000008474: D100001B 009A4922
	v_perm_b32 v31, v27, v26, s52                              // 00000000847C: D1ED001F 00D2351B
	ds_write_b64 v7, v[30:31] offset:144                       // 000000008484: D89A0090 00001E07
	v_mov_b32_e32 v30, v113                                    // 00000000848C: 7E3C0371
	v_mov_b32_e32 v31, v117                                    // 000000008490: 7E3E0375
	v_mov_b32_e32 v32, v121                                    // 000000008494: 7E400379
	v_mov_b32_e32 v33, v125                                    // 000000008498: 7E42037D
	v_cmp_u_f32_e64 s[38:39], v30, v30                         // 00000000849C: D0480026 00023D1E
	v_add3_u32 v34, v30, v37, 1                                // 0000000084A4: D1FF0022 02064B1E
	v_cndmask_b32_e64 v26, v34, v36, s[38:39]                  // 0000000084AC: D100001A 009A4922
	v_cmp_u_f32_e64 s[38:39], v31, v31                         // 0000000084B4: D0480026 00023F1F
	v_add3_u32 v34, v31, v37, 1                                // 0000000084BC: D1FF0022 02064B1F
	v_cndmask_b32_e64 v27, v34, v36, s[38:39]                  // 0000000084C4: D100001B 009A4922
	v_perm_b32 v30, v27, v26, s52                              // 0000000084CC: D1ED001E 00D2351B
	v_cmp_u_f32_e64 s[38:39], v32, v32                         // 0000000084D4: D0480026 00024120
	v_add3_u32 v34, v32, v37, 1                                // 0000000084DC: D1FF0022 02064B20
	v_cndmask_b32_e64 v26, v34, v36, s[38:39]                  // 0000000084E4: D100001A 009A4922
	v_cmp_u_f32_e64 s[38:39], v33, v33                         // 0000000084EC: D0480026 00024321
	v_add3_u32 v34, v33, v37, 1                                // 0000000084F4: D1FF0022 02064B21
	v_cndmask_b32_e64 v27, v34, v36, s[38:39]                  // 0000000084FC: D100001B 009A4922
	v_perm_b32 v31, v27, v26, s52                              // 000000008504: D1ED001F 00D2351B
	ds_write_b64 v7, v[30:31] offset:1296                      // 00000000850C: D89A0510 00001E07
	v_mov_b32_e32 v30, v126                                    // 000000008514: 7E3C037E
	v_mov_b32_e32 v31, v130                                    // 000000008518: 7E3E0382
	v_mov_b32_e32 v32, v134                                    // 00000000851C: 7E400386
	v_mov_b32_e32 v33, v138                                    // 000000008520: 7E42038A
	v_cmp_u_f32_e64 s[38:39], v30, v30                         // 000000008524: D0480026 00023D1E
	v_add3_u32 v34, v30, v37, 1                                // 00000000852C: D1FF0022 02064B1E
	v_cndmask_b32_e64 v26, v34, v36, s[38:39]                  // 000000008534: D100001A 009A4922
	v_cmp_u_f32_e64 s[38:39], v31, v31                         // 00000000853C: D0480026 00023F1F
	v_add3_u32 v34, v31, v37, 1                                // 000000008544: D1FF0022 02064B1F
	v_cndmask_b32_e64 v27, v34, v36, s[38:39]                  // 00000000854C: D100001B 009A4922
	v_perm_b32 v30, v27, v26, s52                              // 000000008554: D1ED001E 00D2351B
	v_cmp_u_f32_e64 s[38:39], v32, v32                         // 00000000855C: D0480026 00024120
	v_add3_u32 v34, v32, v37, 1                                // 000000008564: D1FF0022 02064B20
	v_cndmask_b32_e64 v26, v34, v36, s[38:39]                  // 00000000856C: D100001A 009A4922
	v_cmp_u_f32_e64 s[38:39], v33, v33                         // 000000008574: D0480026 00024321
	v_add3_u32 v34, v33, v37, 1                                // 00000000857C: D1FF0022 02064B21
	v_cndmask_b32_e64 v27, v34, v36, s[38:39]                  // 000000008584: D100001B 009A4922
	v_perm_b32 v31, v27, v26, s52                              // 00000000858C: D1ED001F 00D2351B
	ds_write_b64 v7, v[30:31] offset:2304                      // 000000008594: D89A0900 00001E07
	v_mov_b32_e32 v30, v127                                    // 00000000859C: 7E3C037F
	v_mov_b32_e32 v31, v131                                    // 0000000085A0: 7E3E0383
	v_mov_b32_e32 v32, v135                                    // 0000000085A4: 7E400387
	v_mov_b32_e32 v33, v139                                    // 0000000085A8: 7E42038B
	v_cmp_u_f32_e64 s[38:39], v30, v30                         // 0000000085AC: D0480026 00023D1E
	v_add3_u32 v34, v30, v37, 1                                // 0000000085B4: D1FF0022 02064B1E
	v_cndmask_b32_e64 v26, v34, v36, s[38:39]                  // 0000000085BC: D100001A 009A4922
	v_cmp_u_f32_e64 s[38:39], v31, v31                         // 0000000085C4: D0480026 00023F1F
	v_add3_u32 v34, v31, v37, 1                                // 0000000085CC: D1FF0022 02064B1F
	v_cndmask_b32_e64 v27, v34, v36, s[38:39]                  // 0000000085D4: D100001B 009A4922
	v_perm_b32 v30, v27, v26, s52                              // 0000000085DC: D1ED001E 00D2351B
	v_cmp_u_f32_e64 s[38:39], v32, v32                         // 0000000085E4: D0480026 00024120
	v_add3_u32 v34, v32, v37, 1                                // 0000000085EC: D1FF0022 02064B20
	v_cndmask_b32_e64 v26, v34, v36, s[38:39]                  // 0000000085F4: D100001A 009A4922
	v_cmp_u_f32_e64 s[38:39], v33, v33                         // 0000000085FC: D0480026 00024321
	v_add3_u32 v34, v33, v37, 1                                // 000000008604: D1FF0022 02064B21
	v_cndmask_b32_e64 v27, v34, v36, s[38:39]                  // 00000000860C: D100001B 009A4922
	v_perm_b32 v31, v27, v26, s52                              // 000000008614: D1ED001F 00D2351B
	ds_write_b64 v7, v[30:31] offset:3456                      // 00000000861C: D89A0D80 00001E07
	v_mov_b32_e32 v30, v128                                    // 000000008624: 7E3C0380
	v_mov_b32_e32 v31, v132                                    // 000000008628: 7E3E0384
	v_mov_b32_e32 v32, v136                                    // 00000000862C: 7E400388
	v_mov_b32_e32 v33, v140                                    // 000000008630: 7E42038C
	v_cmp_u_f32_e64 s[38:39], v30, v30                         // 000000008634: D0480026 00023D1E
	v_add3_u32 v34, v30, v37, 1                                // 00000000863C: D1FF0022 02064B1E
	v_cndmask_b32_e64 v26, v34, v36, s[38:39]                  // 000000008644: D100001A 009A4922
	v_cmp_u_f32_e64 s[38:39], v31, v31                         // 00000000864C: D0480026 00023F1F
	v_add3_u32 v34, v31, v37, 1                                // 000000008654: D1FF0022 02064B1F
	v_cndmask_b32_e64 v27, v34, v36, s[38:39]                  // 00000000865C: D100001B 009A4922
	v_perm_b32 v30, v27, v26, s52                              // 000000008664: D1ED001E 00D2351B
	v_cmp_u_f32_e64 s[38:39], v32, v32                         // 00000000866C: D0480026 00024120
	v_add3_u32 v34, v32, v37, 1                                // 000000008674: D1FF0022 02064B20
	v_cndmask_b32_e64 v26, v34, v36, s[38:39]                  // 00000000867C: D100001A 009A4922
	v_cmp_u_f32_e64 s[38:39], v33, v33                         // 000000008684: D0480026 00024321
	v_add3_u32 v34, v33, v37, 1                                // 00000000868C: D1FF0022 02064B21
	v_cndmask_b32_e64 v27, v34, v36, s[38:39]                  // 000000008694: D100001B 009A4922
	v_perm_b32 v31, v27, v26, s52                              // 00000000869C: D1ED001F 00D2351B
	ds_write_b64 v7, v[30:31] offset:2448                      // 0000000086A4: D89A0990 00001E07
	v_mov_b32_e32 v30, v129                                    // 0000000086AC: 7E3C0381
	v_mov_b32_e32 v31, v133                                    // 0000000086B0: 7E3E0385
	v_mov_b32_e32 v32, v137                                    // 0000000086B4: 7E400389
	v_mov_b32_e32 v33, v141                                    // 0000000086B8: 7E42038D
	v_cmp_u_f32_e64 s[38:39], v30, v30                         // 0000000086BC: D0480026 00023D1E
	v_add3_u32 v34, v30, v37, 1                                // 0000000086C4: D1FF0022 02064B1E
	v_cndmask_b32_e64 v26, v34, v36, s[38:39]                  // 0000000086CC: D100001A 009A4922
	v_cmp_u_f32_e64 s[38:39], v31, v31                         // 0000000086D4: D0480026 00023F1F
	v_add3_u32 v34, v31, v37, 1                                // 0000000086DC: D1FF0022 02064B1F
	v_cndmask_b32_e64 v27, v34, v36, s[38:39]                  // 0000000086E4: D100001B 009A4922
	v_perm_b32 v30, v27, v26, s52                              // 0000000086EC: D1ED001E 00D2351B
	v_cmp_u_f32_e64 s[38:39], v32, v32                         // 0000000086F4: D0480026 00024120
	v_add3_u32 v34, v32, v37, 1                                // 0000000086FC: D1FF0022 02064B20
	v_cndmask_b32_e64 v26, v34, v36, s[38:39]                  // 000000008704: D100001A 009A4922
	v_cmp_u_f32_e64 s[38:39], v33, v33                         // 00000000870C: D0480026 00024321
	v_add3_u32 v34, v33, v37, 1                                // 000000008714: D1FF0022 02064B21
	v_cndmask_b32_e64 v27, v34, v36, s[38:39]                  // 00000000871C: D100001B 009A4922
	v_perm_b32 v31, v27, v26, s52                              // 000000008724: D1ED001F 00D2351B
	ds_write_b64 v7, v[30:31] offset:3600                      // 00000000872C: D89A0E10 00001E07
	s_waitcnt lgkmcnt(4)                                       // 000000008734: BF8CC47F
	ds_read_b64 v[46:47], v6                                   // 000000008738: D8EC0000 2E000006
	ds_read_b64 v[50:51], v6 offset:64                         // 000000008740: D8EC0040 32000006
	ds_read_b64 v[48:49], v6 offset:1152                       // 000000008748: D8EC0480 30000006
	ds_read_b64 v[52:53], v6 offset:1216                       // 000000008750: D8EC04C0 34000006
	s_waitcnt lgkmcnt(4)                                       // 000000008758: BF8CC47F
	ds_read_b64 v[54:55], v6 offset:2304                       // 00000000875C: D8EC0900 36000006
	ds_read_b64 v[58:59], v6 offset:2368                       // 000000008764: D8EC0940 3A000006
	ds_read_b64 v[56:57], v6 offset:3456                       // 00000000876C: D8EC0D80 38000006
	ds_read_b64 v[60:61], v6 offset:3520                       // 000000008774: D8EC0DC0 3C000006
	s_waitcnt lgkmcnt(0)                                       // 00000000877C: BF8CC07F
	v_mov_b32_e32 v22, v23                                     // 000000008780: 7E2C0317
	buffer_store_dwordx4 v[46:49], v22, s[88:91], 0 offen offset:512// 000000008784: E07C1200 80162E16
	buffer_store_dwordx4 v[54:57], v22, s[88:91], 0 offen offset:640// 00000000878C: E07C1280 80163616
	v_add_u32_e32 v22, 0x2000, v22                             // 000000008794: 682C2CFF 00002000
	buffer_store_dwordx4 v[50:53], v22, s[88:91], 0 offen offset:512// 00000000879C: E07C1200 80163216
	buffer_store_dwordx4 v[58:61], v22, s[88:91], 0 offen offset:640// 0000000087A4: E07C1280 80163A16
	v_add_u32_e32 v22, 0x2000, v22                             // 0000000087AC: 682C2CFF 00002000
	v_mov_b32_e32 v30, v142                                    // 0000000087B4: 7E3C038E
	v_mov_b32_e32 v31, v146                                    // 0000000087B8: 7E3E0392
	v_mov_b32_e32 v32, v150                                    // 0000000087BC: 7E400396
	v_mov_b32_e32 v33, v154                                    // 0000000087C0: 7E42039A
	v_cmp_u_f32_e64 s[38:39], v30, v30                         // 0000000087C4: D0480026 00023D1E
	v_add3_u32 v34, v30, v37, 1                                // 0000000087CC: D1FF0022 02064B1E
	v_cndmask_b32_e64 v26, v34, v36, s[38:39]                  // 0000000087D4: D100001A 009A4922
	v_cmp_u_f32_e64 s[38:39], v31, v31                         // 0000000087DC: D0480026 00023F1F
	v_add3_u32 v34, v31, v37, 1                                // 0000000087E4: D1FF0022 02064B1F
	v_cndmask_b32_e64 v27, v34, v36, s[38:39]                  // 0000000087EC: D100001B 009A4922
	v_perm_b32 v30, v27, v26, s52                              // 0000000087F4: D1ED001E 00D2351B
	v_cmp_u_f32_e64 s[38:39], v32, v32                         // 0000000087FC: D0480026 00024120
	v_add3_u32 v34, v32, v37, 1                                // 000000008804: D1FF0022 02064B20
	v_cndmask_b32_e64 v26, v34, v36, s[38:39]                  // 00000000880C: D100001A 009A4922
	v_cmp_u_f32_e64 s[38:39], v33, v33                         // 000000008814: D0480026 00024321
	v_add3_u32 v34, v33, v37, 1                                // 00000000881C: D1FF0022 02064B21
	v_cndmask_b32_e64 v27, v34, v36, s[38:39]                  // 000000008824: D100001B 009A4922
	v_perm_b32 v31, v27, v26, s52                              // 00000000882C: D1ED001F 00D2351B
	ds_write_b64 v7, v[30:31]                                  // 000000008834: D89A0000 00001E07
	v_mov_b32_e32 v30, v143                                    // 00000000883C: 7E3C038F
	v_mov_b32_e32 v31, v147                                    // 000000008840: 7E3E0393
	v_mov_b32_e32 v32, v151                                    // 000000008844: 7E400397
	v_mov_b32_e32 v33, v155                                    // 000000008848: 7E42039B
	v_cmp_u_f32_e64 s[38:39], v30, v30                         // 00000000884C: D0480026 00023D1E
	v_add3_u32 v34, v30, v37, 1                                // 000000008854: D1FF0022 02064B1E
	v_cndmask_b32_e64 v26, v34, v36, s[38:39]                  // 00000000885C: D100001A 009A4922
	v_cmp_u_f32_e64 s[38:39], v31, v31                         // 000000008864: D0480026 00023F1F
	v_add3_u32 v34, v31, v37, 1                                // 00000000886C: D1FF0022 02064B1F
	v_cndmask_b32_e64 v27, v34, v36, s[38:39]                  // 000000008874: D100001B 009A4922
	v_perm_b32 v30, v27, v26, s52                              // 00000000887C: D1ED001E 00D2351B
	v_cmp_u_f32_e64 s[38:39], v32, v32                         // 000000008884: D0480026 00024120
	v_add3_u32 v34, v32, v37, 1                                // 00000000888C: D1FF0022 02064B20
	v_cndmask_b32_e64 v26, v34, v36, s[38:39]                  // 000000008894: D100001A 009A4922
	v_cmp_u_f32_e64 s[38:39], v33, v33                         // 00000000889C: D0480026 00024321
	v_add3_u32 v34, v33, v37, 1                                // 0000000088A4: D1FF0022 02064B21
	v_cndmask_b32_e64 v27, v34, v36, s[38:39]                  // 0000000088AC: D100001B 009A4922
	v_perm_b32 v31, v27, v26, s52                              // 0000000088B4: D1ED001F 00D2351B
	ds_write_b64 v7, v[30:31] offset:1152                      // 0000000088BC: D89A0480 00001E07
	v_mov_b32_e32 v30, v144                                    // 0000000088C4: 7E3C0390
	v_mov_b32_e32 v31, v148                                    // 0000000088C8: 7E3E0394
	v_mov_b32_e32 v32, v152                                    // 0000000088CC: 7E400398
	v_mov_b32_e32 v33, v156                                    // 0000000088D0: 7E42039C
	v_cmp_u_f32_e64 s[38:39], v30, v30                         // 0000000088D4: D0480026 00023D1E
	v_add3_u32 v34, v30, v37, 1                                // 0000000088DC: D1FF0022 02064B1E
	v_cndmask_b32_e64 v26, v34, v36, s[38:39]                  // 0000000088E4: D100001A 009A4922
	v_cmp_u_f32_e64 s[38:39], v31, v31                         // 0000000088EC: D0480026 00023F1F
	v_add3_u32 v34, v31, v37, 1                                // 0000000088F4: D1FF0022 02064B1F
	v_cndmask_b32_e64 v27, v34, v36, s[38:39]                  // 0000000088FC: D100001B 009A4922
	v_perm_b32 v30, v27, v26, s52                              // 000000008904: D1ED001E 00D2351B
	v_cmp_u_f32_e64 s[38:39], v32, v32                         // 00000000890C: D0480026 00024120
	v_add3_u32 v34, v32, v37, 1                                // 000000008914: D1FF0022 02064B20
	v_cndmask_b32_e64 v26, v34, v36, s[38:39]                  // 00000000891C: D100001A 009A4922
	v_cmp_u_f32_e64 s[38:39], v33, v33                         // 000000008924: D0480026 00024321
	v_add3_u32 v34, v33, v37, 1                                // 00000000892C: D1FF0022 02064B21
	v_cndmask_b32_e64 v27, v34, v36, s[38:39]                  // 000000008934: D100001B 009A4922
	v_perm_b32 v31, v27, v26, s52                              // 00000000893C: D1ED001F 00D2351B
	ds_write_b64 v7, v[30:31] offset:144                       // 000000008944: D89A0090 00001E07
	v_mov_b32_e32 v30, v145                                    // 00000000894C: 7E3C0391
	v_mov_b32_e32 v31, v149                                    // 000000008950: 7E3E0395
	v_mov_b32_e32 v32, v153                                    // 000000008954: 7E400399
	v_mov_b32_e32 v33, v157                                    // 000000008958: 7E42039D
	v_cmp_u_f32_e64 s[38:39], v30, v30                         // 00000000895C: D0480026 00023D1E
	v_add3_u32 v34, v30, v37, 1                                // 000000008964: D1FF0022 02064B1E
	v_cndmask_b32_e64 v26, v34, v36, s[38:39]                  // 00000000896C: D100001A 009A4922
	v_cmp_u_f32_e64 s[38:39], v31, v31                         // 000000008974: D0480026 00023F1F
	v_add3_u32 v34, v31, v37, 1                                // 00000000897C: D1FF0022 02064B1F
	v_cndmask_b32_e64 v27, v34, v36, s[38:39]                  // 000000008984: D100001B 009A4922
	v_perm_b32 v30, v27, v26, s52                              // 00000000898C: D1ED001E 00D2351B
	v_cmp_u_f32_e64 s[38:39], v32, v32                         // 000000008994: D0480026 00024120
	v_add3_u32 v34, v32, v37, 1                                // 00000000899C: D1FF0022 02064B20
	v_cndmask_b32_e64 v26, v34, v36, s[38:39]                  // 0000000089A4: D100001A 009A4922
	v_cmp_u_f32_e64 s[38:39], v33, v33                         // 0000000089AC: D0480026 00024321
	v_add3_u32 v34, v33, v37, 1                                // 0000000089B4: D1FF0022 02064B21
	v_cndmask_b32_e64 v27, v34, v36, s[38:39]                  // 0000000089BC: D100001B 009A4922
	v_perm_b32 v31, v27, v26, s52                              // 0000000089C4: D1ED001F 00D2351B
	ds_write_b64 v7, v[30:31] offset:1296                      // 0000000089CC: D89A0510 00001E07
	v_mov_b32_e32 v30, v158                                    // 0000000089D4: 7E3C039E
	v_mov_b32_e32 v31, v162                                    // 0000000089D8: 7E3E03A2
	v_mov_b32_e32 v32, v166                                    // 0000000089DC: 7E4003A6
	v_mov_b32_e32 v33, v170                                    // 0000000089E0: 7E4203AA
	v_cmp_u_f32_e64 s[38:39], v30, v30                         // 0000000089E4: D0480026 00023D1E
	v_add3_u32 v34, v30, v37, 1                                // 0000000089EC: D1FF0022 02064B1E
	v_cndmask_b32_e64 v26, v34, v36, s[38:39]                  // 0000000089F4: D100001A 009A4922
	v_cmp_u_f32_e64 s[38:39], v31, v31                         // 0000000089FC: D0480026 00023F1F
	v_add3_u32 v34, v31, v37, 1                                // 000000008A04: D1FF0022 02064B1F
	v_cndmask_b32_e64 v27, v34, v36, s[38:39]                  // 000000008A0C: D100001B 009A4922
	v_perm_b32 v30, v27, v26, s52                              // 000000008A14: D1ED001E 00D2351B
	v_cmp_u_f32_e64 s[38:39], v32, v32                         // 000000008A1C: D0480026 00024120
	v_add3_u32 v34, v32, v37, 1                                // 000000008A24: D1FF0022 02064B20
	v_cndmask_b32_e64 v26, v34, v36, s[38:39]                  // 000000008A2C: D100001A 009A4922
	v_cmp_u_f32_e64 s[38:39], v33, v33                         // 000000008A34: D0480026 00024321
	v_add3_u32 v34, v33, v37, 1                                // 000000008A3C: D1FF0022 02064B21
	v_cndmask_b32_e64 v27, v34, v36, s[38:39]                  // 000000008A44: D100001B 009A4922
	v_perm_b32 v31, v27, v26, s52                              // 000000008A4C: D1ED001F 00D2351B
	ds_write_b64 v7, v[30:31] offset:2304                      // 000000008A54: D89A0900 00001E07
	v_mov_b32_e32 v30, v159                                    // 000000008A5C: 7E3C039F
	v_mov_b32_e32 v31, v163                                    // 000000008A60: 7E3E03A3
	v_mov_b32_e32 v32, v167                                    // 000000008A64: 7E4003A7
	v_mov_b32_e32 v33, v171                                    // 000000008A68: 7E4203AB
	v_cmp_u_f32_e64 s[38:39], v30, v30                         // 000000008A6C: D0480026 00023D1E
	v_add3_u32 v34, v30, v37, 1                                // 000000008A74: D1FF0022 02064B1E
	v_cndmask_b32_e64 v26, v34, v36, s[38:39]                  // 000000008A7C: D100001A 009A4922
	v_cmp_u_f32_e64 s[38:39], v31, v31                         // 000000008A84: D0480026 00023F1F
	v_add3_u32 v34, v31, v37, 1                                // 000000008A8C: D1FF0022 02064B1F
	v_cndmask_b32_e64 v27, v34, v36, s[38:39]                  // 000000008A94: D100001B 009A4922
	v_perm_b32 v30, v27, v26, s52                              // 000000008A9C: D1ED001E 00D2351B
	v_cmp_u_f32_e64 s[38:39], v32, v32                         // 000000008AA4: D0480026 00024120
	v_add3_u32 v34, v32, v37, 1                                // 000000008AAC: D1FF0022 02064B20
	v_cndmask_b32_e64 v26, v34, v36, s[38:39]                  // 000000008AB4: D100001A 009A4922
	v_cmp_u_f32_e64 s[38:39], v33, v33                         // 000000008ABC: D0480026 00024321
	v_add3_u32 v34, v33, v37, 1                                // 000000008AC4: D1FF0022 02064B21
	v_cndmask_b32_e64 v27, v34, v36, s[38:39]                  // 000000008ACC: D100001B 009A4922
	v_perm_b32 v31, v27, v26, s52                              // 000000008AD4: D1ED001F 00D2351B
	ds_write_b64 v7, v[30:31] offset:3456                      // 000000008ADC: D89A0D80 00001E07
	v_mov_b32_e32 v30, v160                                    // 000000008AE4: 7E3C03A0
	v_mov_b32_e32 v31, v164                                    // 000000008AE8: 7E3E03A4
	v_mov_b32_e32 v32, v168                                    // 000000008AEC: 7E4003A8
	v_mov_b32_e32 v33, v172                                    // 000000008AF0: 7E4203AC
	v_cmp_u_f32_e64 s[38:39], v30, v30                         // 000000008AF4: D0480026 00023D1E
	v_add3_u32 v34, v30, v37, 1                                // 000000008AFC: D1FF0022 02064B1E
	v_cndmask_b32_e64 v26, v34, v36, s[38:39]                  // 000000008B04: D100001A 009A4922
	v_cmp_u_f32_e64 s[38:39], v31, v31                         // 000000008B0C: D0480026 00023F1F
	v_add3_u32 v34, v31, v37, 1                                // 000000008B14: D1FF0022 02064B1F
	v_cndmask_b32_e64 v27, v34, v36, s[38:39]                  // 000000008B1C: D100001B 009A4922
	v_perm_b32 v30, v27, v26, s52                              // 000000008B24: D1ED001E 00D2351B
	v_cmp_u_f32_e64 s[38:39], v32, v32                         // 000000008B2C: D0480026 00024120
	v_add3_u32 v34, v32, v37, 1                                // 000000008B34: D1FF0022 02064B20
	v_cndmask_b32_e64 v26, v34, v36, s[38:39]                  // 000000008B3C: D100001A 009A4922
	v_cmp_u_f32_e64 s[38:39], v33, v33                         // 000000008B44: D0480026 00024321
	v_add3_u32 v34, v33, v37, 1                                // 000000008B4C: D1FF0022 02064B21
	v_cndmask_b32_e64 v27, v34, v36, s[38:39]                  // 000000008B54: D100001B 009A4922
	v_perm_b32 v31, v27, v26, s52                              // 000000008B5C: D1ED001F 00D2351B
	ds_write_b64 v7, v[30:31] offset:2448                      // 000000008B64: D89A0990 00001E07
	v_mov_b32_e32 v30, v161                                    // 000000008B6C: 7E3C03A1
	v_mov_b32_e32 v31, v165                                    // 000000008B70: 7E3E03A5
	v_mov_b32_e32 v32, v169                                    // 000000008B74: 7E4003A9
	v_mov_b32_e32 v33, v173                                    // 000000008B78: 7E4203AD
	v_cmp_u_f32_e64 s[38:39], v30, v30                         // 000000008B7C: D0480026 00023D1E
	v_add3_u32 v34, v30, v37, 1                                // 000000008B84: D1FF0022 02064B1E
	v_cndmask_b32_e64 v26, v34, v36, s[38:39]                  // 000000008B8C: D100001A 009A4922
	v_cmp_u_f32_e64 s[38:39], v31, v31                         // 000000008B94: D0480026 00023F1F
	v_add3_u32 v34, v31, v37, 1                                // 000000008B9C: D1FF0022 02064B1F
	v_cndmask_b32_e64 v27, v34, v36, s[38:39]                  // 000000008BA4: D100001B 009A4922
	v_perm_b32 v30, v27, v26, s52                              // 000000008BAC: D1ED001E 00D2351B
	v_cmp_u_f32_e64 s[38:39], v32, v32                         // 000000008BB4: D0480026 00024120
	v_add3_u32 v34, v32, v37, 1                                // 000000008BBC: D1FF0022 02064B20
	v_cndmask_b32_e64 v26, v34, v36, s[38:39]                  // 000000008BC4: D100001A 009A4922
	v_cmp_u_f32_e64 s[38:39], v33, v33                         // 000000008BCC: D0480026 00024321
	v_add3_u32 v34, v33, v37, 1                                // 000000008BD4: D1FF0022 02064B21
	v_cndmask_b32_e64 v27, v34, v36, s[38:39]                  // 000000008BDC: D100001B 009A4922
	v_perm_b32 v31, v27, v26, s52                              // 000000008BE4: D1ED001F 00D2351B
	ds_write_b64 v7, v[30:31] offset:3600                      // 000000008BEC: D89A0E10 00001E07
	s_waitcnt lgkmcnt(4)                                       // 000000008BF4: BF8CC47F
	ds_read_b64 v[46:47], v6                                   // 000000008BF8: D8EC0000 2E000006
	ds_read_b64 v[50:51], v6 offset:64                         // 000000008C00: D8EC0040 32000006
	ds_read_b64 v[48:49], v6 offset:1152                       // 000000008C08: D8EC0480 30000006
	ds_read_b64 v[52:53], v6 offset:1216                       // 000000008C10: D8EC04C0 34000006
	s_waitcnt lgkmcnt(4)                                       // 000000008C18: BF8CC47F
	ds_read_b64 v[54:55], v6 offset:2304                       // 000000008C1C: D8EC0900 36000006
	ds_read_b64 v[58:59], v6 offset:2368                       // 000000008C24: D8EC0940 3A000006
	ds_read_b64 v[56:57], v6 offset:3456                       // 000000008C2C: D8EC0D80 38000006
	ds_read_b64 v[60:61], v6 offset:3520                       // 000000008C34: D8EC0DC0 3C000006
	s_waitcnt lgkmcnt(0)                                       // 000000008C3C: BF8CC07F
	v_mov_b32_e32 v22, v23                                     // 000000008C40: 7E2C0317
	buffer_store_dwordx4 v[46:49], v22, s[88:91], 0 offen offset:768// 000000008C44: E07C1300 80162E16
	buffer_store_dwordx4 v[54:57], v22, s[88:91], 0 offen offset:896// 000000008C4C: E07C1380 80163616
	v_add_u32_e32 v22, 0x2000, v22                             // 000000008C54: 682C2CFF 00002000
	buffer_store_dwordx4 v[50:53], v22, s[88:91], 0 offen offset:768// 000000008C5C: E07C1300 80163216
	buffer_store_dwordx4 v[58:61], v22, s[88:91], 0 offen offset:896// 000000008C64: E07C1380 80163A16
	v_add_u32_e32 v22, 0x2000, v22                             // 000000008C6C: 682C2CFF 00002000
	s_branch label_1C0C                                        // 000000008C74: BF8201AE

0000000000008c78 <label_1A5E>:
	s_mov_b32 s75, 0x8000                                      // 000000008C78: BECB00FF 00008000
	s_mul_i32 s76, s87, s75                                    // 000000008C80: 924C4B57
	s_mov_b32 s56, s76                                         // 000000008C84: BEB8004C
	s_add_u32 s8, s56, s8                                      // 000000008C88: 80080838
	s_addc_u32 s9, 0, s9                                       // 000000008C8C: 82090980
	s_sub_u32 s56, s81, s80                                    // 000000008C90: 80B85051
	s_mul_i32 s56, s56, s75                                    // 000000008C94: 92384B38
	s_mov_b32 s10, s56                                         // 000000008C98: BE8A0038
	v_and_b32_e32 v26, 15, v0                                  // 000000008C9C: 2634008F
	v_lshlrev_b32_e32 v22, 4, v26                              // 000000008CA0: 242C3484
	v_lshrrev_b32_e32 v26, 4, v0                               // 000000008CA4: 20340084
	v_mul_i32_i24_e32 v26, 0x800, v26                          // 000000008CA8: 0C3434FF 00000800
	v_add_u32_e32 v22, v22, v26                                // 000000008CB0: 682C3516
	s_mul_i32 s56, s7, s75                                     // 000000008CB4: 92384B07
	v_add_u32_e64 v22, v22, s56                                // 000000008CB8: D1340016 00007116
	v_mov_b32_e32 v23, v22                                     // 000000008CC0: 7E2E0316
	s_mov_b32 s58, 64                                          // 000000008CC4: BEBA00C0
	s_mul_i32 s56, s58, s87                                    // 000000008CC8: 9238573A
	s_add_u32 s12, s56, s12                                    // 000000008CCC: 800C0C38
	s_addc_u32 s13, 0, s13                                     // 000000008CD0: 820D0D80
	s_sub_u32 s56, s81, s80                                    // 000000008CD4: 80B85051
	s_mul_i32 s56, s56, s58                                    // 000000008CD8: 92383A38
	s_mov_b32 s14, s56                                         // 000000008CDC: BE8E0038
	v_and_b32_e32 v32, 15, v0                                  // 000000008CE0: 2640008F
	v_lshlrev_b32_e32 v32, 2, v32                              // 000000008CE4: 24404082
	s_mul_i32 s56, s7, s57                                     // 000000008CE8: 92383907
	s_mul_i32 s57, s58, s7                                     // 000000008CEC: 9239073A
	v_add_u32_e64 v32, v32, s57                                // 000000008CF0: D1340020 00007320
	s_waitcnt vmcnt(0) lgkmcnt(0)                              // 000000008CF8: BF8C0070
	s_barrier                                                  // 000000008CFC: BF8A0000
	v_lshlrev_b32_e32 v7, 2, v0                                // 000000008D00: 240E0082
	s_mul_i32 s56, s7, 0x840                                   // 000000008D04: 9238FF07 00000840
	v_add_u32_e32 v7, s56, v7                                  // 000000008D0C: 680E0E38
	v_lshlrev_b32_e32 v7, 2, v7                                // 000000008D10: 240E0E82
	v_lshrrev_b32_e32 v26, 4, v0                               // 000000008D14: 20340084
	v_mul_i32_i24_e32 v6, 4, v26                               // 000000008D18: 0C0C3484
	v_and_b32_e32 v26, 3, v0                                   // 000000008D1C: 26340083
	v_mul_i32_i24_e32 v26, 0x108, v26                          // 000000008D20: 0C3434FF 00000108
	v_add_u32_e32 v6, v26, v6                                  // 000000008D28: 680C0D1A
	v_and_b32_e32 v26, 15, v0                                  // 000000008D2C: 2634008F
	v_lshrrev_b32_e32 v26, 2, v26                              // 000000008D30: 20343482
	v_mul_i32_i24_e32 v26, 64, v26                             // 000000008D34: 0C3434C0
	v_add_u32_e32 v6, v26, v6                                  // 000000008D38: 680C0D1A
	s_mul_i32 s56, s7, 0x840                                   // 000000008D3C: 9238FF07 00000840
	v_add_u32_e32 v6, s56, v6                                  // 000000008D44: 680C0C38
	v_lshlrev_b32_e32 v6, 2, v6                                // 000000008D48: 240C0C82
	s_mul_i32 s56, 0, s76                                      // 000000008D4C: 92384C80
	v_add_u32_e64 v23, v23, s56                                // 000000008D50: D1340017 00007117
	v_mov_b32_e32 v26, v46                                     // 000000008D58: 7E34032E
	v_mov_b32_e32 v27, v50                                     // 000000008D5C: 7E360332
	v_mov_b32_e32 v28, v54                                     // 000000008D60: 7E380336
	v_mov_b32_e32 v29, v58                                     // 000000008D64: 7E3A033A
	ds_write_b128 v7, v[26:29]                                 // 000000008D68: D9BE0000 00001A07
	v_mov_b32_e32 v26, v47                                     // 000000008D70: 7E34032F
	v_mov_b32_e32 v27, v51                                     // 000000008D74: 7E360333
	v_mov_b32_e32 v28, v55                                     // 000000008D78: 7E380337
	v_mov_b32_e32 v29, v59                                     // 000000008D7C: 7E3A033B
	ds_write_b128 v7, v[26:29] offset:1056                     // 000000008D80: D9BE0420 00001A07
	v_mov_b32_e32 v26, v48                                     // 000000008D88: 7E340330
	v_mov_b32_e32 v27, v52                                     // 000000008D8C: 7E360334
	v_mov_b32_e32 v28, v56                                     // 000000008D90: 7E380338
	v_mov_b32_e32 v29, v60                                     // 000000008D94: 7E3A033C
	ds_write_b128 v7, v[26:29] offset:2112                     // 000000008D98: D9BE0840 00001A07
	v_mov_b32_e32 v26, v49                                     // 000000008DA0: 7E340331
	v_mov_b32_e32 v27, v53                                     // 000000008DA4: 7E360335
	v_mov_b32_e32 v28, v57                                     // 000000008DA8: 7E380339
	v_mov_b32_e32 v29, v61                                     // 000000008DAC: 7E3A033D
	ds_write_b128 v7, v[26:29] offset:3168                     // 000000008DB0: D9BE0C60 00001A07
	v_mov_b32_e32 v26, v62                                     // 000000008DB8: 7E34033E
	v_mov_b32_e32 v27, v66                                     // 000000008DBC: 7E360342
	v_mov_b32_e32 v28, v70                                     // 000000008DC0: 7E380346
	v_mov_b32_e32 v29, v74                                     // 000000008DC4: 7E3A034A
	ds_write_b128 v7, v[26:29] offset:4224                     // 000000008DC8: D9BE1080 00001A07
	v_mov_b32_e32 v26, v63                                     // 000000008DD0: 7E34033F
	v_mov_b32_e32 v27, v67                                     // 000000008DD4: 7E360343
	v_mov_b32_e32 v28, v71                                     // 000000008DD8: 7E380347
	v_mov_b32_e32 v29, v75                                     // 000000008DDC: 7E3A034B
	ds_write_b128 v7, v[26:29] offset:5280                     // 000000008DE0: D9BE14A0 00001A07
	v_mov_b32_e32 v26, v64                                     // 000000008DE8: 7E340340
	v_mov_b32_e32 v27, v68                                     // 000000008DEC: 7E360344
	v_mov_b32_e32 v28, v72                                     // 000000008DF0: 7E380348
	v_mov_b32_e32 v29, v76                                     // 000000008DF4: 7E3A034C
	ds_write_b128 v7, v[26:29] offset:6336                     // 000000008DF8: D9BE18C0 00001A07
	v_mov_b32_e32 v26, v65                                     // 000000008E00: 7E340341
	v_mov_b32_e32 v27, v69                                     // 000000008E04: 7E360345
	v_mov_b32_e32 v28, v73                                     // 000000008E08: 7E380349
	v_mov_b32_e32 v29, v77                                     // 000000008E0C: 7E3A034D
	ds_write_b128 v7, v[26:29] offset:7392                     // 000000008E10: D9BE1CE0 00001A07
	s_waitcnt lgkmcnt(4)                                       // 000000008E18: BF8CC47F
	ds_read_b128 v[46:49], v6                                  // 000000008E1C: D9FE0000 2E000006
	ds_read_b128 v[50:53], v6 offset:64                        // 000000008E24: D9FE0040 32000006
	ds_read_b128 v[54:57], v6 offset:128                       // 000000008E2C: D9FE0080 36000006
	ds_read_b128 v[58:61], v6 offset:192                       // 000000008E34: D9FE00C0 3A000006
	s_waitcnt lgkmcnt(4)                                       // 000000008E3C: BF8CC47F
	ds_read_b128 v[62:65], v6 offset:4224                      // 000000008E40: D9FE1080 3E000006
	ds_read_b128 v[66:69], v6 offset:4288                      // 000000008E48: D9FE10C0 42000006
	ds_read_b128 v[70:73], v6 offset:4352                      // 000000008E50: D9FE1100 46000006
	ds_read_b128 v[74:77], v6 offset:4416                      // 000000008E58: D9FE1140 4A000006
	s_waitcnt lgkmcnt(0)                                       // 000000008E60: BF8CC07F
	v_mov_b32_e32 v22, v23                                     // 000000008E64: 7E2C0317
	buffer_store_dwordx4 v[46:49], v22, s[8:11], 0 offen       // 000000008E68: E07C1000 80022E16
	buffer_store_dwordx4 v[62:65], v22, s[8:11], 0 offen offset:256// 000000008E70: E07C1100 80023E16
	v_add_u32_e32 v22, 0x2000, v22                             // 000000008E78: 682C2CFF 00002000
	buffer_store_dwordx4 v[50:53], v22, s[8:11], 0 offen       // 000000008E80: E07C1000 80023216
	buffer_store_dwordx4 v[66:69], v22, s[8:11], 0 offen offset:256// 000000008E88: E07C1100 80024216
	v_add_u32_e32 v22, 0x2000, v22                             // 000000008E90: 682C2CFF 00002000
	buffer_store_dwordx4 v[54:57], v22, s[8:11], 0 offen       // 000000008E98: E07C1000 80023616
	buffer_store_dwordx4 v[70:73], v22, s[8:11], 0 offen offset:256// 000000008EA0: E07C1100 80024616
	v_add_u32_e32 v22, 0x2000, v22                             // 000000008EA8: 682C2CFF 00002000
	buffer_store_dwordx4 v[58:61], v22, s[8:11], 0 offen       // 000000008EB0: E07C1000 80023A16
	buffer_store_dwordx4 v[74:77], v22, s[8:11], 0 offen offset:256// 000000008EB8: E07C1100 80024A16
	v_add_u32_e32 v22, 0x2000, v22                             // 000000008EC0: 682C2CFF 00002000
	v_mov_b32_e32 v26, v78                                     // 000000008EC8: 7E34034E
	v_mov_b32_e32 v27, v82                                     // 000000008ECC: 7E360352
	v_mov_b32_e32 v28, v86                                     // 000000008ED0: 7E380356
	v_mov_b32_e32 v29, v90                                     // 000000008ED4: 7E3A035A
	ds_write_b128 v7, v[26:29]                                 // 000000008ED8: D9BE0000 00001A07
	v_mov_b32_e32 v26, v79                                     // 000000008EE0: 7E34034F
	v_mov_b32_e32 v27, v83                                     // 000000008EE4: 7E360353
	v_mov_b32_e32 v28, v87                                     // 000000008EE8: 7E380357
	v_mov_b32_e32 v29, v91                                     // 000000008EEC: 7E3A035B
	ds_write_b128 v7, v[26:29] offset:1056                     // 000000008EF0: D9BE0420 00001A07
	v_mov_b32_e32 v26, v80                                     // 000000008EF8: 7E340350
	v_mov_b32_e32 v27, v84                                     // 000000008EFC: 7E360354
	v_mov_b32_e32 v28, v88                                     // 000000008F00: 7E380358
	v_mov_b32_e32 v29, v92                                     // 000000008F04: 7E3A035C
	ds_write_b128 v7, v[26:29] offset:2112                     // 000000008F08: D9BE0840 00001A07
	v_mov_b32_e32 v26, v81                                     // 000000008F10: 7E340351
	v_mov_b32_e32 v27, v85                                     // 000000008F14: 7E360355
	v_mov_b32_e32 v28, v89                                     // 000000008F18: 7E380359
	v_mov_b32_e32 v29, v93                                     // 000000008F1C: 7E3A035D
	ds_write_b128 v7, v[26:29] offset:3168                     // 000000008F20: D9BE0C60 00001A07
	v_mov_b32_e32 v26, v94                                     // 000000008F28: 7E34035E
	v_mov_b32_e32 v27, v98                                     // 000000008F2C: 7E360362
	v_mov_b32_e32 v28, v102                                    // 000000008F30: 7E380366
	v_mov_b32_e32 v29, v106                                    // 000000008F34: 7E3A036A
	ds_write_b128 v7, v[26:29] offset:4224                     // 000000008F38: D9BE1080 00001A07
	v_mov_b32_e32 v26, v95                                     // 000000008F40: 7E34035F
	v_mov_b32_e32 v27, v99                                     // 000000008F44: 7E360363
	v_mov_b32_e32 v28, v103                                    // 000000008F48: 7E380367
	v_mov_b32_e32 v29, v107                                    // 000000008F4C: 7E3A036B
	ds_write_b128 v7, v[26:29] offset:5280                     // 000000008F50: D9BE14A0 00001A07
	v_mov_b32_e32 v26, v96                                     // 000000008F58: 7E340360
	v_mov_b32_e32 v27, v100                                    // 000000008F5C: 7E360364
	v_mov_b32_e32 v28, v104                                    // 000000008F60: 7E380368
	v_mov_b32_e32 v29, v108                                    // 000000008F64: 7E3A036C
	ds_write_b128 v7, v[26:29] offset:6336                     // 000000008F68: D9BE18C0 00001A07
	v_mov_b32_e32 v26, v97                                     // 000000008F70: 7E340361
	v_mov_b32_e32 v27, v101                                    // 000000008F74: 7E360365
	v_mov_b32_e32 v28, v105                                    // 000000008F78: 7E380369
	v_mov_b32_e32 v29, v109                                    // 000000008F7C: 7E3A036D
	ds_write_b128 v7, v[26:29] offset:7392                     // 000000008F80: D9BE1CE0 00001A07
	s_waitcnt lgkmcnt(4)                                       // 000000008F88: BF8CC47F
	ds_read_b128 v[46:49], v6                                  // 000000008F8C: D9FE0000 2E000006
	ds_read_b128 v[50:53], v6 offset:64                        // 000000008F94: D9FE0040 32000006
	ds_read_b128 v[54:57], v6 offset:128                       // 000000008F9C: D9FE0080 36000006
	ds_read_b128 v[58:61], v6 offset:192                       // 000000008FA4: D9FE00C0 3A000006
	s_waitcnt lgkmcnt(4)                                       // 000000008FAC: BF8CC47F
	ds_read_b128 v[62:65], v6 offset:4224                      // 000000008FB0: D9FE1080 3E000006
	ds_read_b128 v[66:69], v6 offset:4288                      // 000000008FB8: D9FE10C0 42000006
	ds_read_b128 v[70:73], v6 offset:4352                      // 000000008FC0: D9FE1100 46000006
	ds_read_b128 v[74:77], v6 offset:4416                      // 000000008FC8: D9FE1140 4A000006
	s_waitcnt lgkmcnt(0)                                       // 000000008FD0: BF8CC07F
	v_mov_b32_e32 v22, v23                                     // 000000008FD4: 7E2C0317
	buffer_store_dwordx4 v[46:49], v22, s[8:11], 0 offen offset:512// 000000008FD8: E07C1200 80022E16
	buffer_store_dwordx4 v[62:65], v22, s[8:11], 0 offen offset:768// 000000008FE0: E07C1300 80023E16
	v_add_u32_e32 v22, 0x2000, v22                             // 000000008FE8: 682C2CFF 00002000
	buffer_store_dwordx4 v[50:53], v22, s[8:11], 0 offen offset:512// 000000008FF0: E07C1200 80023216
	buffer_store_dwordx4 v[66:69], v22, s[8:11], 0 offen offset:768// 000000008FF8: E07C1300 80024216
	v_add_u32_e32 v22, 0x2000, v22                             // 000000009000: 682C2CFF 00002000
	buffer_store_dwordx4 v[54:57], v22, s[8:11], 0 offen offset:512// 000000009008: E07C1200 80023616
	buffer_store_dwordx4 v[70:73], v22, s[8:11], 0 offen offset:768// 000000009010: E07C1300 80024616
	v_add_u32_e32 v22, 0x2000, v22                             // 000000009018: 682C2CFF 00002000
	buffer_store_dwordx4 v[58:61], v22, s[8:11], 0 offen offset:512// 000000009020: E07C1200 80023A16
	buffer_store_dwordx4 v[74:77], v22, s[8:11], 0 offen offset:768// 000000009028: E07C1300 80024A16
	v_add_u32_e32 v22, 0x2000, v22                             // 000000009030: 682C2CFF 00002000
	v_mov_b32_e32 v26, v110                                    // 000000009038: 7E34036E
	v_mov_b32_e32 v27, v114                                    // 00000000903C: 7E360372
	v_mov_b32_e32 v28, v118                                    // 000000009040: 7E380376
	v_mov_b32_e32 v29, v122                                    // 000000009044: 7E3A037A
	ds_write_b128 v7, v[26:29]                                 // 000000009048: D9BE0000 00001A07
	v_mov_b32_e32 v26, v111                                    // 000000009050: 7E34036F
	v_mov_b32_e32 v27, v115                                    // 000000009054: 7E360373
	v_mov_b32_e32 v28, v119                                    // 000000009058: 7E380377
	v_mov_b32_e32 v29, v123                                    // 00000000905C: 7E3A037B
	ds_write_b128 v7, v[26:29] offset:1056                     // 000000009060: D9BE0420 00001A07
	v_mov_b32_e32 v26, v112                                    // 000000009068: 7E340370
	v_mov_b32_e32 v27, v116                                    // 00000000906C: 7E360374
	v_mov_b32_e32 v28, v120                                    // 000000009070: 7E380378
	v_mov_b32_e32 v29, v124                                    // 000000009074: 7E3A037C
	ds_write_b128 v7, v[26:29] offset:2112                     // 000000009078: D9BE0840 00001A07
	v_mov_b32_e32 v26, v113                                    // 000000009080: 7E340371
	v_mov_b32_e32 v27, v117                                    // 000000009084: 7E360375
	v_mov_b32_e32 v28, v121                                    // 000000009088: 7E380379
	v_mov_b32_e32 v29, v125                                    // 00000000908C: 7E3A037D
	ds_write_b128 v7, v[26:29] offset:3168                     // 000000009090: D9BE0C60 00001A07
	v_mov_b32_e32 v26, v126                                    // 000000009098: 7E34037E
	v_mov_b32_e32 v27, v130                                    // 00000000909C: 7E360382
	v_mov_b32_e32 v28, v134                                    // 0000000090A0: 7E380386
	v_mov_b32_e32 v29, v138                                    // 0000000090A4: 7E3A038A
	ds_write_b128 v7, v[26:29] offset:4224                     // 0000000090A8: D9BE1080 00001A07
	v_mov_b32_e32 v26, v127                                    // 0000000090B0: 7E34037F
	v_mov_b32_e32 v27, v131                                    // 0000000090B4: 7E360383
	v_mov_b32_e32 v28, v135                                    // 0000000090B8: 7E380387
	v_mov_b32_e32 v29, v139                                    // 0000000090BC: 7E3A038B
	ds_write_b128 v7, v[26:29] offset:5280                     // 0000000090C0: D9BE14A0 00001A07
	v_mov_b32_e32 v26, v128                                    // 0000000090C8: 7E340380
	v_mov_b32_e32 v27, v132                                    // 0000000090CC: 7E360384
	v_mov_b32_e32 v28, v136                                    // 0000000090D0: 7E380388
	v_mov_b32_e32 v29, v140                                    // 0000000090D4: 7E3A038C
	ds_write_b128 v7, v[26:29] offset:6336                     // 0000000090D8: D9BE18C0 00001A07
	v_mov_b32_e32 v26, v129                                    // 0000000090E0: 7E340381
	v_mov_b32_e32 v27, v133                                    // 0000000090E4: 7E360385
	v_mov_b32_e32 v28, v137                                    // 0000000090E8: 7E380389
	v_mov_b32_e32 v29, v141                                    // 0000000090EC: 7E3A038D
	ds_write_b128 v7, v[26:29] offset:7392                     // 0000000090F0: D9BE1CE0 00001A07
	s_waitcnt lgkmcnt(4)                                       // 0000000090F8: BF8CC47F
	ds_read_b128 v[46:49], v6                                  // 0000000090FC: D9FE0000 2E000006
	ds_read_b128 v[50:53], v6 offset:64                        // 000000009104: D9FE0040 32000006
	ds_read_b128 v[54:57], v6 offset:128                       // 00000000910C: D9FE0080 36000006
	ds_read_b128 v[58:61], v6 offset:192                       // 000000009114: D9FE00C0 3A000006
	s_waitcnt lgkmcnt(4)                                       // 00000000911C: BF8CC47F
	ds_read_b128 v[62:65], v6 offset:4224                      // 000000009120: D9FE1080 3E000006
	ds_read_b128 v[66:69], v6 offset:4288                      // 000000009128: D9FE10C0 42000006
	ds_read_b128 v[70:73], v6 offset:4352                      // 000000009130: D9FE1100 46000006
	ds_read_b128 v[74:77], v6 offset:4416                      // 000000009138: D9FE1140 4A000006
	s_waitcnt lgkmcnt(0)                                       // 000000009140: BF8CC07F
	v_mov_b32_e32 v22, v23                                     // 000000009144: 7E2C0317
	buffer_store_dwordx4 v[46:49], v22, s[8:11], 0 offen offset:1024// 000000009148: E07C1400 80022E16
	buffer_store_dwordx4 v[62:65], v22, s[8:11], 0 offen offset:1280// 000000009150: E07C1500 80023E16
	v_add_u32_e32 v22, 0x2000, v22                             // 000000009158: 682C2CFF 00002000
	buffer_store_dwordx4 v[50:53], v22, s[8:11], 0 offen offset:1024// 000000009160: E07C1400 80023216
	buffer_store_dwordx4 v[66:69], v22, s[8:11], 0 offen offset:1280// 000000009168: E07C1500 80024216
	v_add_u32_e32 v22, 0x2000, v22                             // 000000009170: 682C2CFF 00002000
	buffer_store_dwordx4 v[54:57], v22, s[8:11], 0 offen offset:1024// 000000009178: E07C1400 80023616
	buffer_store_dwordx4 v[70:73], v22, s[8:11], 0 offen offset:1280// 000000009180: E07C1500 80024616
	v_add_u32_e32 v22, 0x2000, v22                             // 000000009188: 682C2CFF 00002000
	buffer_store_dwordx4 v[58:61], v22, s[8:11], 0 offen offset:1024// 000000009190: E07C1400 80023A16
	buffer_store_dwordx4 v[74:77], v22, s[8:11], 0 offen offset:1280// 000000009198: E07C1500 80024A16
	v_add_u32_e32 v22, 0x2000, v22                             // 0000000091A0: 682C2CFF 00002000
	v_mov_b32_e32 v26, v142                                    // 0000000091A8: 7E34038E
	v_mov_b32_e32 v27, v146                                    // 0000000091AC: 7E360392
	v_mov_b32_e32 v28, v150                                    // 0000000091B0: 7E380396
	v_mov_b32_e32 v29, v154                                    // 0000000091B4: 7E3A039A
	ds_write_b128 v7, v[26:29]                                 // 0000000091B8: D9BE0000 00001A07
	v_mov_b32_e32 v26, v143                                    // 0000000091C0: 7E34038F
	v_mov_b32_e32 v27, v147                                    // 0000000091C4: 7E360393
	v_mov_b32_e32 v28, v151                                    // 0000000091C8: 7E380397
	v_mov_b32_e32 v29, v155                                    // 0000000091CC: 7E3A039B
	ds_write_b128 v7, v[26:29] offset:1056                     // 0000000091D0: D9BE0420 00001A07
	v_mov_b32_e32 v26, v144                                    // 0000000091D8: 7E340390
	v_mov_b32_e32 v27, v148                                    // 0000000091DC: 7E360394
	v_mov_b32_e32 v28, v152                                    // 0000000091E0: 7E380398
	v_mov_b32_e32 v29, v156                                    // 0000000091E4: 7E3A039C
	ds_write_b128 v7, v[26:29] offset:2112                     // 0000000091E8: D9BE0840 00001A07
	v_mov_b32_e32 v26, v145                                    // 0000000091F0: 7E340391
	v_mov_b32_e32 v27, v149                                    // 0000000091F4: 7E360395
	v_mov_b32_e32 v28, v153                                    // 0000000091F8: 7E380399
	v_mov_b32_e32 v29, v157                                    // 0000000091FC: 7E3A039D
	ds_write_b128 v7, v[26:29] offset:3168                     // 000000009200: D9BE0C60 00001A07
	v_mov_b32_e32 v26, v158                                    // 000000009208: 7E34039E
	v_mov_b32_e32 v27, v162                                    // 00000000920C: 7E3603A2
	v_mov_b32_e32 v28, v166                                    // 000000009210: 7E3803A6
	v_mov_b32_e32 v29, v170                                    // 000000009214: 7E3A03AA
	ds_write_b128 v7, v[26:29] offset:4224                     // 000000009218: D9BE1080 00001A07
	v_mov_b32_e32 v26, v159                                    // 000000009220: 7E34039F
	v_mov_b32_e32 v27, v163                                    // 000000009224: 7E3603A3
	v_mov_b32_e32 v28, v167                                    // 000000009228: 7E3803A7
	v_mov_b32_e32 v29, v171                                    // 00000000922C: 7E3A03AB
	ds_write_b128 v7, v[26:29] offset:5280                     // 000000009230: D9BE14A0 00001A07
	v_mov_b32_e32 v26, v160                                    // 000000009238: 7E3403A0
	v_mov_b32_e32 v27, v164                                    // 00000000923C: 7E3603A4
	v_mov_b32_e32 v28, v168                                    // 000000009240: 7E3803A8
	v_mov_b32_e32 v29, v172                                    // 000000009244: 7E3A03AC
	ds_write_b128 v7, v[26:29] offset:6336                     // 000000009248: D9BE18C0 00001A07
	v_mov_b32_e32 v26, v161                                    // 000000009250: 7E3403A1
	v_mov_b32_e32 v27, v165                                    // 000000009254: 7E3603A5
	v_mov_b32_e32 v28, v169                                    // 000000009258: 7E3803A9
	v_mov_b32_e32 v29, v173                                    // 00000000925C: 7E3A03AD
	ds_write_b128 v7, v[26:29] offset:7392                     // 000000009260: D9BE1CE0 00001A07
	s_waitcnt lgkmcnt(4)                                       // 000000009268: BF8CC47F
	ds_read_b128 v[46:49], v6                                  // 00000000926C: D9FE0000 2E000006
	ds_read_b128 v[50:53], v6 offset:64                        // 000000009274: D9FE0040 32000006
	ds_read_b128 v[54:57], v6 offset:128                       // 00000000927C: D9FE0080 36000006
	ds_read_b128 v[58:61], v6 offset:192                       // 000000009284: D9FE00C0 3A000006
	s_waitcnt lgkmcnt(4)                                       // 00000000928C: BF8CC47F
	ds_read_b128 v[62:65], v6 offset:4224                      // 000000009290: D9FE1080 3E000006
	ds_read_b128 v[66:69], v6 offset:4288                      // 000000009298: D9FE10C0 42000006
	ds_read_b128 v[70:73], v6 offset:4352                      // 0000000092A0: D9FE1100 46000006
	ds_read_b128 v[74:77], v6 offset:4416                      // 0000000092A8: D9FE1140 4A000006
	s_waitcnt lgkmcnt(0)                                       // 0000000092B0: BF8CC07F
	v_mov_b32_e32 v22, v23                                     // 0000000092B4: 7E2C0317
	buffer_store_dwordx4 v[46:49], v22, s[8:11], 0 offen offset:1536// 0000000092B8: E07C1600 80022E16
	buffer_store_dwordx4 v[62:65], v22, s[8:11], 0 offen offset:1792// 0000000092C0: E07C1700 80023E16
	v_add_u32_e32 v22, 0x2000, v22                             // 0000000092C8: 682C2CFF 00002000
	buffer_store_dwordx4 v[50:53], v22, s[8:11], 0 offen offset:1536// 0000000092D0: E07C1600 80023216
	buffer_store_dwordx4 v[66:69], v22, s[8:11], 0 offen offset:1792// 0000000092D8: E07C1700 80024216
	v_add_u32_e32 v22, 0x2000, v22                             // 0000000092E0: 682C2CFF 00002000
	buffer_store_dwordx4 v[54:57], v22, s[8:11], 0 offen offset:1536// 0000000092E8: E07C1600 80023616
	buffer_store_dwordx4 v[70:73], v22, s[8:11], 0 offen offset:1792// 0000000092F0: E07C1700 80024616
	v_add_u32_e32 v22, 0x2000, v22                             // 0000000092F8: 682C2CFF 00002000
	buffer_store_dwordx4 v[58:61], v22, s[8:11], 0 offen offset:1536// 000000009300: E07C1600 80023A16
	buffer_store_dwordx4 v[74:77], v22, s[8:11], 0 offen offset:1792// 000000009308: E07C1700 80024A16
	v_add_u32_e32 v22, 0x2000, v22                             // 000000009310: 682C2CFF 00002000
	v_mov_b32_e32 v26, v30                                     // 000000009318: 7E34031E
	buffer_store_dword v30, v32, s[12:15], 0 offen             // 00000000931C: E0701000 80031E20
	s_mul_i32 s56, 4, s77                                      // 000000009324: 92384D84
	v_add_u32_e64 v32, v32, s56                                // 000000009328: D1340020 00007120

0000000000009330 <label_1C0C>:
	s_mov_b32 s56, 32                                          // 000000009330: BEB800A0
	s_addk_i32 s85, 0x1                                        // 000000009334: B7550001
	s_cmp_lt_i32 s85, s86                                      // 000000009338: BF045655
	s_cbranch_scc1 label_0029                                  // 00000000933C: BF85E419

0000000000009340 <label_1C10>:
	s_waitcnt vmcnt(0) expcnt(0) lgkmcnt(0)                    // 000000009340: BF8C0000
	s_endpgm                                                   // 000000009344: BF810000
